;; amdgpu-corpus repo=ggml-org/llama.cpp kind=compiled arch=gfx90a opt=O3
	.text
	.amdgcn_target "amdgcn-amd-amdhsa--gfx90a"
	.amdhsa_code_object_version 6
	.section	.text._ZL25dequantize_block_q8_0_f16ILb0EEvPKvP6__halfl,"axG",@progbits,_ZL25dequantize_block_q8_0_f16ILb0EEvPKvP6__halfl,comdat
	.globl	_ZL25dequantize_block_q8_0_f16ILb0EEvPKvP6__halfl ; -- Begin function _ZL25dequantize_block_q8_0_f16ILb0EEvPKvP6__halfl
	.p2align	8
	.type	_ZL25dequantize_block_q8_0_f16ILb0EEvPKvP6__halfl,@function
_ZL25dequantize_block_q8_0_f16ILb0EEvPKvP6__halfl: ; @_ZL25dequantize_block_q8_0_f16ILb0EEvPKvP6__halfl
; %bb.0:
	s_load_dwordx4 s[0:3], s[4:5], 0x0
	s_lshl_b32 s4, s6, 11
	s_mulk_i32 s6, 0x220
	s_mov_b32 s7, 0
	s_lshl_b64 s[8:9], s[6:7], 2
	s_waitcnt lgkmcnt(0)
	s_add_u32 s0, s0, s8
	s_addc_u32 s1, s1, s9
	v_lshlrev_b32_e32 v1, 2, v0
	global_load_dword v3, v1, s[0:1]
	global_load_dword v4, v1, s[0:1] offset:128
	global_load_dword v5, v1, s[0:1] offset:256
	;; [unrolled: 1-line block ×16, first 2 shown]
	v_lshlrev_b32_e32 v2, 1, v0
	v_and_b32_e32 v20, 15, v0
	v_lshrrev_b32_e32 v21, 4, v0
	v_lshlrev_b32_e32 v0, 1, v20
	v_add_u32_e32 v20, 64, v2
	v_add_u32_e32 v24, 0x80, v2
	;; [unrolled: 1-line block ×3, first 2 shown]
	v_mul_u32_u24_e32 v23, 34, v21
	v_lshrrev_b32_e32 v20, 5, v20
	v_lshrrev_b32_e32 v24, 5, v24
	;; [unrolled: 1-line block ×3, first 2 shown]
	v_add_u32_e32 v22, 0x400, v1
	v_mad_u32_u24 v21, v21, 34, v0
	v_mul_u32_u24_e32 v28, 34, v20
	v_mad_u32_u24 v20, v20, 34, v0
	v_mul_u32_u24_e32 v29, 34, v24
	v_mad_u32_u24 v24, v24, 34, v0
	v_mul_u32_u24_e32 v30, 34, v25
	v_mad_u32_u24 v25, v25, 34, v0
	s_mov_b32 s5, s7
	s_lshl_b64 s[0:1], s[4:5], 1
	s_add_u32 s0, s2, s0
	s_addc_u32 s1, s3, s1
	v_add_u32_e32 v26, 0x100, v2
	v_add_u32_e32 v27, 0x140, v2
	v_lshrrev_b32_e32 v26, 5, v26
	v_lshrrev_b32_e32 v27, 5, v27
	v_mul_u32_u24_e32 v31, 34, v26
	v_mad_u32_u24 v26, v26, 34, v0
	s_waitcnt vmcnt(15)
	ds_write2_b32 v1, v3, v4 offset1:32
	s_waitcnt vmcnt(13)
	ds_write2_b32 v1, v5, v6 offset0:64 offset1:96
	s_waitcnt vmcnt(11)
	ds_write2_b32 v1, v7, v8 offset0:128 offset1:160
	s_waitcnt vmcnt(9)
	ds_write2_b32 v1, v9, v10 offset0:192 offset1:224
	s_waitcnt vmcnt(7)
	ds_write2_b32 v22, v11, v12 offset1:32
	s_waitcnt vmcnt(5)
	ds_write2_b32 v22, v13, v14 offset0:64 offset1:96
	s_waitcnt vmcnt(3)
	ds_write2_b32 v22, v15, v16 offset0:128 offset1:160
	;; [unrolled: 2-line block ×3, first 2 shown]
	s_waitcnt vmcnt(0)
	ds_write_b32 v1, v19 offset:2048
	s_waitcnt lgkmcnt(0)
	s_barrier
	ds_read_u16 v3, v23
	ds_read_u16 v4, v21 offset:2
	ds_read_u16 v5, v28
	ds_read_u16 v6, v20 offset:2
	;; [unrolled: 2-line block ×4, first 2 shown]
	s_waitcnt lgkmcnt(6)
	v_cvt_f16_i16_sdwa v11, sext(v4) dst_sel:DWORD dst_unused:UNUSED_PAD src0_sel:BYTE_0
	v_cvt_f16_i16_sdwa v4, sext(v4) dst_sel:DWORD dst_unused:UNUSED_PAD src0_sel:BYTE_1
	s_waitcnt lgkmcnt(4)
	v_cvt_f16_i16_sdwa v12, sext(v6) dst_sel:DWORD dst_unused:UNUSED_PAD src0_sel:BYTE_0
	v_cvt_f16_i16_sdwa v6, sext(v6) dst_sel:DWORD dst_unused:UNUSED_PAD src0_sel:BYTE_1
	;; [unrolled: 3-line block ×4, first 2 shown]
	v_pack_b32_f16 v4, v11, v4
	v_pack_b32_f16 v6, v12, v6
	;; [unrolled: 1-line block ×4, first 2 shown]
	v_pk_mul_f16 v3, v3, v4 op_sel_hi:[0,1]
	v_pk_mul_f16 v4, v5, v6 op_sel_hi:[0,1]
	;; [unrolled: 1-line block ×4, first 2 shown]
	global_store_dword v1, v3, s[0:1]
	global_store_dword v1, v4, s[0:1] offset:128
	global_store_dword v1, v5, s[0:1] offset:256
	;; [unrolled: 1-line block ×3, first 2 shown]
	v_add_u32_e32 v5, 0x180, v2
	v_add_u32_e32 v7, 0x1c0, v2
	v_lshrrev_b32_e32 v5, 5, v5
	v_lshrrev_b32_e32 v7, 5, v7
	v_mul_u32_u24_e32 v3, 34, v27
	v_mad_u32_u24 v4, v27, 34, v0
	v_mul_u32_u24_e32 v6, 34, v5
	v_mad_u32_u24 v5, v5, 34, v0
	v_mul_u32_u24_e32 v8, 34, v7
	v_mad_u32_u24 v7, v7, 34, v0
	ds_read_u16 v9, v31
	ds_read_u16 v10, v26 offset:2
	ds_read_u16 v3, v3
	ds_read_u16 v4, v4 offset:2
	ds_read_u16 v6, v6
	ds_read_u16 v5, v5 offset:2
	ds_read_u16 v8, v8
	ds_read_u16 v7, v7 offset:2
	s_waitcnt lgkmcnt(6)
	v_cvt_f16_i16_sdwa v11, sext(v10) dst_sel:DWORD dst_unused:UNUSED_PAD src0_sel:BYTE_0
	v_cvt_f16_i16_sdwa v10, sext(v10) dst_sel:DWORD dst_unused:UNUSED_PAD src0_sel:BYTE_1
	v_pack_b32_f16 v10, v11, v10
	v_pk_mul_f16 v9, v9, v10 op_sel_hi:[0,1]
	global_store_dword v1, v9, s[0:1] offset:512
	s_waitcnt lgkmcnt(4)
	v_cvt_f16_i16_sdwa v9, sext(v4) dst_sel:DWORD dst_unused:UNUSED_PAD src0_sel:BYTE_0
	v_cvt_f16_i16_sdwa v4, sext(v4) dst_sel:DWORD dst_unused:UNUSED_PAD src0_sel:BYTE_1
	v_pack_b32_f16 v4, v9, v4
	v_pk_mul_f16 v3, v3, v4 op_sel_hi:[0,1]
	global_store_dword v1, v3, s[0:1] offset:640
	s_waitcnt lgkmcnt(2)
	v_cvt_f16_i16_sdwa v3, sext(v5) dst_sel:DWORD dst_unused:UNUSED_PAD src0_sel:BYTE_0
	v_cvt_f16_i16_sdwa v4, sext(v5) dst_sel:DWORD dst_unused:UNUSED_PAD src0_sel:BYTE_1
	v_pack_b32_f16 v3, v3, v4
	v_pk_mul_f16 v3, v6, v3 op_sel_hi:[0,1]
	global_store_dword v1, v3, s[0:1] offset:768
	s_waitcnt lgkmcnt(0)
	v_cvt_f16_i16_sdwa v3, sext(v7) dst_sel:DWORD dst_unused:UNUSED_PAD src0_sel:BYTE_0
	v_cvt_f16_i16_sdwa v4, sext(v7) dst_sel:DWORD dst_unused:UNUSED_PAD src0_sel:BYTE_1
	v_pack_b32_f16 v3, v3, v4
	v_pk_mul_f16 v3, v8, v3 op_sel_hi:[0,1]
	global_store_dword v1, v3, s[0:1] offset:896
	v_add_u32_e32 v3, 0x200, v2
	v_add_u32_e32 v5, 0x240, v2
	v_add_u32_e32 v7, 0x280, v2
	v_add_u32_e32 v9, 0x2c0, v2
	v_lshrrev_b32_e32 v3, 5, v3
	v_lshrrev_b32_e32 v5, 5, v5
	v_lshrrev_b32_e32 v7, 5, v7
	v_lshrrev_b32_e32 v9, 5, v9
	v_mul_u32_u24_e32 v4, 34, v3
	v_mad_u32_u24 v3, v3, 34, v0
	v_mul_u32_u24_e32 v6, 34, v5
	v_mad_u32_u24 v5, v5, 34, v0
	v_mul_u32_u24_e32 v8, 34, v7
	v_mad_u32_u24 v7, v7, 34, v0
	v_mul_u32_u24_e32 v10, 34, v9
	v_mad_u32_u24 v9, v9, 34, v0
	ds_read_u16 v4, v4
	ds_read_u16 v3, v3 offset:2
	ds_read_u16 v6, v6
	ds_read_u16 v5, v5 offset:2
	ds_read_u16 v8, v8
	ds_read_u16 v7, v7 offset:2
	ds_read_u16 v10, v10
	ds_read_u16 v9, v9 offset:2
	s_waitcnt lgkmcnt(6)
	v_cvt_f16_i16_sdwa v11, sext(v3) dst_sel:DWORD dst_unused:UNUSED_PAD src0_sel:BYTE_0
	v_cvt_f16_i16_sdwa v3, sext(v3) dst_sel:DWORD dst_unused:UNUSED_PAD src0_sel:BYTE_1
	v_pack_b32_f16 v3, v11, v3
	v_pk_mul_f16 v3, v4, v3 op_sel_hi:[0,1]
	global_store_dword v1, v3, s[0:1] offset:1024
	s_waitcnt lgkmcnt(4)
	v_cvt_f16_i16_sdwa v3, sext(v5) dst_sel:DWORD dst_unused:UNUSED_PAD src0_sel:BYTE_0
	v_cvt_f16_i16_sdwa v4, sext(v5) dst_sel:DWORD dst_unused:UNUSED_PAD src0_sel:BYTE_1
	v_pack_b32_f16 v3, v3, v4
	v_pk_mul_f16 v3, v6, v3 op_sel_hi:[0,1]
	global_store_dword v1, v3, s[0:1] offset:1152
	s_waitcnt lgkmcnt(2)
	v_cvt_f16_i16_sdwa v3, sext(v7) dst_sel:DWORD dst_unused:UNUSED_PAD src0_sel:BYTE_0
	v_cvt_f16_i16_sdwa v4, sext(v7) dst_sel:DWORD dst_unused:UNUSED_PAD src0_sel:BYTE_1
	v_pack_b32_f16 v3, v3, v4
	v_pk_mul_f16 v3, v8, v3 op_sel_hi:[0,1]
	global_store_dword v1, v3, s[0:1] offset:1280
	s_waitcnt lgkmcnt(0)
	v_cvt_f16_i16_sdwa v3, sext(v9) dst_sel:DWORD dst_unused:UNUSED_PAD src0_sel:BYTE_0
	v_cvt_f16_i16_sdwa v4, sext(v9) dst_sel:DWORD dst_unused:UNUSED_PAD src0_sel:BYTE_1
	v_pack_b32_f16 v3, v3, v4
	v_pk_mul_f16 v3, v10, v3 op_sel_hi:[0,1]
	global_store_dword v1, v3, s[0:1] offset:1408
	v_add_u32_e32 v3, 0x300, v2
	v_add_u32_e32 v5, 0x340, v2
	v_add_u32_e32 v7, 0x380, v2
	v_add_u32_e32 v9, 0x3c0, v2
	v_lshrrev_b32_e32 v3, 5, v3
	v_lshrrev_b32_e32 v5, 5, v5
	v_lshrrev_b32_e32 v7, 5, v7
	v_lshrrev_b32_e32 v9, 5, v9
	v_mul_u32_u24_e32 v4, 34, v3
	v_mad_u32_u24 v3, v3, 34, v0
	;; [unrolled: 48-line block ×6, first 2 shown]
	v_mul_u32_u24_e32 v6, 34, v5
	v_mad_u32_u24 v5, v5, 34, v0
	v_mul_u32_u24_e32 v8, 34, v7
	v_mad_u32_u24 v7, v7, 34, v0
	v_mad_u32_u24 v0, v2, 34, v0
	v_mul_u32_u24_e32 v9, 34, v2
	ds_read_u16 v2, v4
	ds_read_u16 v3, v3 offset:2
	ds_read_u16 v4, v6
	ds_read_u16 v5, v5 offset:2
	ds_read_u16 v6, v8
	ds_read_u16 v7, v7 offset:2
	ds_read_u16 v8, v9
	ds_read_u16 v0, v0 offset:2
	s_waitcnt lgkmcnt(6)
	v_cvt_f16_i16_sdwa v9, sext(v3) dst_sel:DWORD dst_unused:UNUSED_PAD src0_sel:BYTE_0
	v_cvt_f16_i16_sdwa v3, sext(v3) dst_sel:DWORD dst_unused:UNUSED_PAD src0_sel:BYTE_1
	v_pack_b32_f16 v3, v9, v3
	v_pk_mul_f16 v2, v2, v3 op_sel_hi:[0,1]
	global_store_dword v1, v2, s[0:1] offset:3584
	s_waitcnt lgkmcnt(4)
	v_cvt_f16_i16_sdwa v2, sext(v5) dst_sel:DWORD dst_unused:UNUSED_PAD src0_sel:BYTE_0
	v_cvt_f16_i16_sdwa v3, sext(v5) dst_sel:DWORD dst_unused:UNUSED_PAD src0_sel:BYTE_1
	v_pack_b32_f16 v2, v2, v3
	v_pk_mul_f16 v2, v4, v2 op_sel_hi:[0,1]
	global_store_dword v1, v2, s[0:1] offset:3712
	;; [unrolled: 6-line block ×4, first 2 shown]
	s_endpgm
	.section	.rodata,"a",@progbits
	.p2align	6, 0x0
	.amdhsa_kernel _ZL25dequantize_block_q8_0_f16ILb0EEvPKvP6__halfl
		.amdhsa_group_segment_fixed_size 2176
		.amdhsa_private_segment_fixed_size 0
		.amdhsa_kernarg_size 24
		.amdhsa_user_sgpr_count 6
		.amdhsa_user_sgpr_private_segment_buffer 1
		.amdhsa_user_sgpr_dispatch_ptr 0
		.amdhsa_user_sgpr_queue_ptr 0
		.amdhsa_user_sgpr_kernarg_segment_ptr 1
		.amdhsa_user_sgpr_dispatch_id 0
		.amdhsa_user_sgpr_flat_scratch_init 0
		.amdhsa_user_sgpr_kernarg_preload_length 0
		.amdhsa_user_sgpr_kernarg_preload_offset 0
		.amdhsa_user_sgpr_private_segment_size 0
		.amdhsa_uses_dynamic_stack 0
		.amdhsa_system_sgpr_private_segment_wavefront_offset 0
		.amdhsa_system_sgpr_workgroup_id_x 1
		.amdhsa_system_sgpr_workgroup_id_y 0
		.amdhsa_system_sgpr_workgroup_id_z 0
		.amdhsa_system_sgpr_workgroup_info 0
		.amdhsa_system_vgpr_workitem_id 0
		.amdhsa_next_free_vgpr 32
		.amdhsa_next_free_sgpr 10
		.amdhsa_accum_offset 32
		.amdhsa_reserve_vcc 0
		.amdhsa_reserve_flat_scratch 0
		.amdhsa_float_round_mode_32 0
		.amdhsa_float_round_mode_16_64 0
		.amdhsa_float_denorm_mode_32 3
		.amdhsa_float_denorm_mode_16_64 3
		.amdhsa_dx10_clamp 1
		.amdhsa_ieee_mode 1
		.amdhsa_fp16_overflow 0
		.amdhsa_tg_split 0
		.amdhsa_exception_fp_ieee_invalid_op 0
		.amdhsa_exception_fp_denorm_src 0
		.amdhsa_exception_fp_ieee_div_zero 0
		.amdhsa_exception_fp_ieee_overflow 0
		.amdhsa_exception_fp_ieee_underflow 0
		.amdhsa_exception_fp_ieee_inexact 0
		.amdhsa_exception_int_div_zero 0
	.end_amdhsa_kernel
	.section	.text._ZL25dequantize_block_q8_0_f16ILb0EEvPKvP6__halfl,"axG",@progbits,_ZL25dequantize_block_q8_0_f16ILb0EEvPKvP6__halfl,comdat
.Lfunc_end0:
	.size	_ZL25dequantize_block_q8_0_f16ILb0EEvPKvP6__halfl, .Lfunc_end0-_ZL25dequantize_block_q8_0_f16ILb0EEvPKvP6__halfl
                                        ; -- End function
	.section	.AMDGPU.csdata,"",@progbits
; Kernel info:
; codeLenInByte = 3008
; NumSgprs: 14
; NumVgprs: 32
; NumAgprs: 0
; TotalNumVgprs: 32
; ScratchSize: 0
; MemoryBound: 0
; FloatMode: 240
; IeeeMode: 1
; LDSByteSize: 2176 bytes/workgroup (compile time only)
; SGPRBlocks: 1
; VGPRBlocks: 3
; NumSGPRsForWavesPerEU: 14
; NumVGPRsForWavesPerEU: 32
; AccumOffset: 32
; Occupancy: 8
; WaveLimiterHint : 1
; COMPUTE_PGM_RSRC2:SCRATCH_EN: 0
; COMPUTE_PGM_RSRC2:USER_SGPR: 6
; COMPUTE_PGM_RSRC2:TRAP_HANDLER: 0
; COMPUTE_PGM_RSRC2:TGID_X_EN: 1
; COMPUTE_PGM_RSRC2:TGID_Y_EN: 0
; COMPUTE_PGM_RSRC2:TGID_Z_EN: 0
; COMPUTE_PGM_RSRC2:TIDIG_COMP_CNT: 0
; COMPUTE_PGM_RSRC3_GFX90A:ACCUM_OFFSET: 7
; COMPUTE_PGM_RSRC3_GFX90A:TG_SPLIT: 0
	.section	.text._ZL25dequantize_block_q8_0_f16ILb1EEvPKvP6__halfl,"axG",@progbits,_ZL25dequantize_block_q8_0_f16ILb1EEvPKvP6__halfl,comdat
	.globl	_ZL25dequantize_block_q8_0_f16ILb1EEvPKvP6__halfl ; -- Begin function _ZL25dequantize_block_q8_0_f16ILb1EEvPKvP6__halfl
	.p2align	8
	.type	_ZL25dequantize_block_q8_0_f16ILb1EEvPKvP6__halfl,@function
_ZL25dequantize_block_q8_0_f16ILb1EEvPKvP6__halfl: ; @_ZL25dequantize_block_q8_0_f16ILb1EEvPKvP6__halfl
; %bb.0:
	s_load_dwordx2 s[0:1], s[4:5], 0x10
	s_lshl_b32 s2, s6, 11
	s_mul_i32 s8, s6, 0x11000
	s_mul_hi_u32 s9, s2, 34
	s_lshr_b64 s[8:9], s[8:9], 5
	s_waitcnt lgkmcnt(0)
	s_mul_i32 s7, s1, 34
	s_mul_hi_u32 s10, s0, 34
	v_lshlrev_b32_e32 v1, 2, v0
	s_add_i32 s11, s10, s7
	s_mul_i32 s10, s0, 34
	v_mov_b32_e32 v3, s9
	v_add_co_u32_e32 v2, vcc, s8, v1
	s_lshr_b64 s[12:13], s[10:11], 5
	v_addc_co_u32_e32 v3, vcc, 0, v3, vcc
	s_mov_b32 s3, 0
	v_cmp_gt_u64_e32 vcc, s[12:13], v[2:3]
	s_and_saveexec_b64 s[10:11], vcc
	s_cbranch_execz .LBB1_18
; %bb.1:
	s_load_dwordx2 s[14:15], s[4:5], 0x0
	s_mulk_i32 s6, 0x220
	s_mov_b32 s7, s3
	s_lshl_b64 s[6:7], s[6:7], 2
	v_add_u32_e32 v2, 0x80, v1
	s_waitcnt lgkmcnt(0)
	s_add_u32 s6, s14, s6
	s_addc_u32 s7, s15, s7
	global_load_dword v4, v1, s[6:7]
	v_mov_b32_e32 v3, s9
	v_add_co_u32_e32 v2, vcc, s8, v2
	v_addc_co_u32_e32 v3, vcc, 0, v3, vcc
	v_cmp_gt_u64_e32 vcc, s[12:13], v[2:3]
	s_waitcnt vmcnt(0)
	ds_write_b32 v1, v4
	s_and_b64 exec, exec, vcc
	s_cbranch_execz .LBB1_18
; %bb.2:
	v_mov_b32_e32 v3, s7
	v_add_co_u32_e32 v2, vcc, s6, v1
	v_addc_co_u32_e32 v3, vcc, 0, v3, vcc
	global_load_dword v6, v[2:3], off offset:128
	v_mov_b32_e32 v4, 0x100
	v_lshl_add_u32 v4, v0, 2, v4
	v_mov_b32_e32 v5, s9
	v_add_co_u32_e32 v4, vcc, s8, v4
	v_addc_co_u32_e32 v5, vcc, 0, v5, vcc
	v_cmp_gt_u64_e32 vcc, s[12:13], v[4:5]
	s_waitcnt vmcnt(0)
	ds_write_b32 v1, v6 offset:128
	s_and_b64 exec, exec, vcc
	s_cbranch_execz .LBB1_18
; %bb.3:
	global_load_dword v6, v[2:3], off offset:256
	v_mov_b32_e32 v4, 0x180
	v_lshl_add_u32 v4, v0, 2, v4
	v_mov_b32_e32 v5, s9
	v_add_co_u32_e32 v4, vcc, s8, v4
	v_addc_co_u32_e32 v5, vcc, 0, v5, vcc
	v_cmp_gt_u64_e32 vcc, s[12:13], v[4:5]
	s_waitcnt vmcnt(0)
	ds_write_b32 v1, v6 offset:256
	s_and_b64 exec, exec, vcc
	s_cbranch_execz .LBB1_18
; %bb.4:
	;; [unrolled: 12-line block ×15, first 2 shown]
	global_load_dword v2, v[2:3], off offset:2048
	s_waitcnt vmcnt(0)
	ds_write_b32 v1, v2 offset:2048
.LBB1_18:
	s_or_b64 exec, exec, s[10:11]
	v_lshlrev_b32_e32 v2, 1, v0
	v_or_b32_e32 v4, s2, v2
	v_mov_b32_e32 v5, s3
	v_cmp_gt_i64_e32 vcc, s[0:1], v[4:5]
	s_waitcnt lgkmcnt(0)
	s_barrier
	s_and_saveexec_b64 s[6:7], vcc
	s_cbranch_execz .LBB1_51
; %bb.19:
	v_and_b32_e32 v3, 15, v0
	v_lshrrev_b32_e32 v0, 4, v0
	v_lshlrev_b32_e32 v3, 1, v3
	s_load_dwordx2 s[4:5], s[4:5], 0x8
	v_mul_u32_u24_e32 v4, 34, v0
	v_mad_u32_u24 v0, v0, 34, v3
	ds_read_u16 v0, v0 offset:2
	ds_read_u16 v4, v4
	s_lshl_b64 s[6:7], s[2:3], 1
	s_waitcnt lgkmcnt(0)
	s_add_u32 s4, s4, s6
	s_addc_u32 s5, s5, s7
	v_cvt_f16_i16_sdwa v5, sext(v0) dst_sel:DWORD dst_unused:UNUSED_PAD src0_sel:BYTE_0
	v_cvt_f16_i16_sdwa v0, sext(v0) dst_sel:DWORD dst_unused:UNUSED_PAD src0_sel:BYTE_1
	v_pack_b32_f16 v0, v5, v0
	s_or_b32 s3, s2, 64
	v_pk_mul_f16 v0, v4, v0 op_sel_hi:[0,1]
	v_add_co_u32_e32 v4, vcc, s3, v2
	v_addc_co_u32_e64 v5, s[6:7], 0, 0, vcc
	v_cmp_gt_u64_e32 vcc, s[0:1], v[4:5]
	global_store_dword v1, v0, s[4:5]
	s_and_b64 exec, exec, vcc
	s_cbranch_execz .LBB1_51
; %bb.20:
	v_add_u32_e32 v0, 64, v2
	v_lshrrev_b32_e32 v0, 5, v0
	v_mul_u32_u24_e32 v5, 34, v0
	v_mad_u32_u24 v0, v0, 34, v3
	ds_read_u16 v5, v5
	ds_read_u16 v6, v0 offset:2
	v_mov_b32_e32 v4, s5
	v_add_co_u32_e32 v0, vcc, s4, v1
	v_addc_co_u32_e32 v1, vcc, 0, v4, vcc
	s_waitcnt lgkmcnt(0)
	v_cvt_f16_i16_sdwa v4, sext(v6) dst_sel:DWORD dst_unused:UNUSED_PAD src0_sel:BYTE_0
	v_cvt_f16_i16_sdwa v6, sext(v6) dst_sel:DWORD dst_unused:UNUSED_PAD src0_sel:BYTE_1
	v_pack_b32_f16 v4, v4, v6
	v_pk_mul_f16 v4, v5, v4 op_sel_hi:[0,1]
	s_or_b32 s3, s2, 0x80
	global_store_dword v[0:1], v4, off offset:128
	v_add_co_u32_e32 v4, vcc, s3, v2
	v_addc_co_u32_e64 v5, s[4:5], 0, 0, vcc
	v_cmp_gt_u64_e32 vcc, s[0:1], v[4:5]
	s_and_b64 exec, exec, vcc
	s_cbranch_execz .LBB1_51
; %bb.21:
	v_add_u32_e32 v4, 0x80, v2
	v_lshrrev_b32_e32 v4, 5, v4
	v_mad_u32_u24 v5, v4, 34, v3
	ds_read_u16 v5, v5 offset:2
	v_mul_u32_u24_e32 v4, 34, v4
	ds_read_u16 v4, v4
	s_or_b32 s3, s2, 0xc0
	s_waitcnt lgkmcnt(1)
	v_cvt_f16_i16_sdwa v6, sext(v5) dst_sel:DWORD dst_unused:UNUSED_PAD src0_sel:BYTE_0
	v_cvt_f16_i16_sdwa v5, sext(v5) dst_sel:DWORD dst_unused:UNUSED_PAD src0_sel:BYTE_1
	v_pack_b32_f16 v5, v6, v5
	s_waitcnt lgkmcnt(0)
	v_pk_mul_f16 v4, v4, v5 op_sel_hi:[0,1]
	global_store_dword v[0:1], v4, off offset:256
	v_add_co_u32_e32 v4, vcc, s3, v2
	v_addc_co_u32_e64 v5, s[4:5], 0, 0, vcc
	v_cmp_gt_u64_e32 vcc, s[0:1], v[4:5]
	s_and_b64 exec, exec, vcc
	s_cbranch_execz .LBB1_51
; %bb.22:
	v_add_u32_e32 v4, 0xc0, v2
	v_lshrrev_b32_e32 v4, 5, v4
	v_mad_u32_u24 v5, v4, 34, v3
	ds_read_u16 v5, v5 offset:2
	v_mul_u32_u24_e32 v4, 34, v4
	ds_read_u16 v4, v4
	s_or_b32 s3, s2, 0x100
	s_waitcnt lgkmcnt(1)
	v_cvt_f16_i16_sdwa v6, sext(v5) dst_sel:DWORD dst_unused:UNUSED_PAD src0_sel:BYTE_0
	v_cvt_f16_i16_sdwa v5, sext(v5) dst_sel:DWORD dst_unused:UNUSED_PAD src0_sel:BYTE_1
	v_pack_b32_f16 v5, v6, v5
	s_waitcnt lgkmcnt(0)
	v_pk_mul_f16 v4, v4, v5 op_sel_hi:[0,1]
	;; [unrolled: 20-line block ×29, first 2 shown]
	global_store_dword v[0:1], v4, off offset:3840
	v_add_co_u32_e32 v4, vcc, s2, v2
	v_addc_co_u32_e64 v5, s[2:3], 0, 0, vcc
	v_cmp_gt_u64_e32 vcc, s[0:1], v[4:5]
	s_and_b64 exec, exec, vcc
	s_cbranch_execz .LBB1_51
; %bb.50:
	v_add_u32_e32 v2, 0x7c0, v2
	v_lshrrev_b32_e32 v2, 5, v2
	v_mad_u32_u24 v3, v2, 34, v3
	ds_read_u16 v3, v3 offset:2
	v_mul_u32_u24_e32 v2, 34, v2
	ds_read_u16 v2, v2
	s_waitcnt lgkmcnt(1)
	v_cvt_f16_i16_sdwa v4, sext(v3) dst_sel:DWORD dst_unused:UNUSED_PAD src0_sel:BYTE_0
	v_cvt_f16_i16_sdwa v3, sext(v3) dst_sel:DWORD dst_unused:UNUSED_PAD src0_sel:BYTE_1
	v_pack_b32_f16 v3, v4, v3
	s_waitcnt lgkmcnt(0)
	v_pk_mul_f16 v2, v2, v3 op_sel_hi:[0,1]
	global_store_dword v[0:1], v2, off offset:3968
.LBB1_51:
	s_endpgm
	.section	.rodata,"a",@progbits
	.p2align	6, 0x0
	.amdhsa_kernel _ZL25dequantize_block_q8_0_f16ILb1EEvPKvP6__halfl
		.amdhsa_group_segment_fixed_size 2176
		.amdhsa_private_segment_fixed_size 0
		.amdhsa_kernarg_size 24
		.amdhsa_user_sgpr_count 6
		.amdhsa_user_sgpr_private_segment_buffer 1
		.amdhsa_user_sgpr_dispatch_ptr 0
		.amdhsa_user_sgpr_queue_ptr 0
		.amdhsa_user_sgpr_kernarg_segment_ptr 1
		.amdhsa_user_sgpr_dispatch_id 0
		.amdhsa_user_sgpr_flat_scratch_init 0
		.amdhsa_user_sgpr_kernarg_preload_length 0
		.amdhsa_user_sgpr_kernarg_preload_offset 0
		.amdhsa_user_sgpr_private_segment_size 0
		.amdhsa_uses_dynamic_stack 0
		.amdhsa_system_sgpr_private_segment_wavefront_offset 0
		.amdhsa_system_sgpr_workgroup_id_x 1
		.amdhsa_system_sgpr_workgroup_id_y 0
		.amdhsa_system_sgpr_workgroup_id_z 0
		.amdhsa_system_sgpr_workgroup_info 0
		.amdhsa_system_vgpr_workitem_id 0
		.amdhsa_next_free_vgpr 7
		.amdhsa_next_free_sgpr 16
		.amdhsa_accum_offset 8
		.amdhsa_reserve_vcc 1
		.amdhsa_reserve_flat_scratch 0
		.amdhsa_float_round_mode_32 0
		.amdhsa_float_round_mode_16_64 0
		.amdhsa_float_denorm_mode_32 3
		.amdhsa_float_denorm_mode_16_64 3
		.amdhsa_dx10_clamp 1
		.amdhsa_ieee_mode 1
		.amdhsa_fp16_overflow 0
		.amdhsa_tg_split 0
		.amdhsa_exception_fp_ieee_invalid_op 0
		.amdhsa_exception_fp_denorm_src 0
		.amdhsa_exception_fp_ieee_div_zero 0
		.amdhsa_exception_fp_ieee_overflow 0
		.amdhsa_exception_fp_ieee_underflow 0
		.amdhsa_exception_fp_ieee_inexact 0
		.amdhsa_exception_int_div_zero 0
	.end_amdhsa_kernel
	.section	.text._ZL25dequantize_block_q8_0_f16ILb1EEvPKvP6__halfl,"axG",@progbits,_ZL25dequantize_block_q8_0_f16ILb1EEvPKvP6__halfl,comdat
.Lfunc_end1:
	.size	_ZL25dequantize_block_q8_0_f16ILb1EEvPKvP6__halfl, .Lfunc_end1-_ZL25dequantize_block_q8_0_f16ILb1EEvPKvP6__halfl
                                        ; -- End function
	.section	.AMDGPU.csdata,"",@progbits
; Kernel info:
; codeLenInByte = 4964
; NumSgprs: 20
; NumVgprs: 7
; NumAgprs: 0
; TotalNumVgprs: 7
; ScratchSize: 0
; MemoryBound: 0
; FloatMode: 240
; IeeeMode: 1
; LDSByteSize: 2176 bytes/workgroup (compile time only)
; SGPRBlocks: 2
; VGPRBlocks: 0
; NumSGPRsForWavesPerEU: 20
; NumVGPRsForWavesPerEU: 7
; AccumOffset: 8
; Occupancy: 8
; WaveLimiterHint : 0
; COMPUTE_PGM_RSRC2:SCRATCH_EN: 0
; COMPUTE_PGM_RSRC2:USER_SGPR: 6
; COMPUTE_PGM_RSRC2:TRAP_HANDLER: 0
; COMPUTE_PGM_RSRC2:TGID_X_EN: 1
; COMPUTE_PGM_RSRC2:TGID_Y_EN: 0
; COMPUTE_PGM_RSRC2:TGID_Z_EN: 0
; COMPUTE_PGM_RSRC2:TIDIG_COMP_CNT: 0
; COMPUTE_PGM_RSRC3_GFX90A:ACCUM_OFFSET: 1
; COMPUTE_PGM_RSRC3_GFX90A:TG_SPLIT: 0
	.section	.text._ZL21dequantize_block_q4_0I6__halfEvPKvPT_i,"axG",@progbits,_ZL21dequantize_block_q4_0I6__halfEvPKvPT_i,comdat
	.globl	_ZL21dequantize_block_q4_0I6__halfEvPKvPT_i ; -- Begin function _ZL21dequantize_block_q4_0I6__halfEvPKvPT_i
	.p2align	8
	.type	_ZL21dequantize_block_q4_0I6__halfEvPKvPT_i,@function
_ZL21dequantize_block_q4_0I6__halfEvPKvPT_i: ; @_ZL21dequantize_block_q4_0I6__halfEvPKvPT_i
; %bb.0:
	s_load_dword s0, s[4:5], 0x10
	s_mov_b32 s7, 0
	v_and_b32_e32 v2, 7, v0
	s_lshl_b64 s[2:3], s[6:7], 3
	v_mov_b32_e32 v5, s3
	s_waitcnt lgkmcnt(0)
	s_ashr_i32 s1, s0, 31
	v_or_b32_e32 v4, s2, v2
	v_cmp_gt_i64_e32 vcc, s[0:1], v[4:5]
	s_and_saveexec_b64 s[0:1], vcc
	s_cbranch_execz .LBB2_2
; %bb.1:
	s_load_dwordx4 s[0:3], s[4:5], 0x0
	v_lshrrev_b32_e32 v0, 1, v0
	v_and_b32_e32 v3, 0x1fc, v0
	s_waitcnt lgkmcnt(0)
	v_mad_u64_u32 v[0:1], s[0:1], v4, 18, s[0:1]
	v_mad_u32_u24 v1, v5, 18, v1
	v_add_co_u32_e32 v4, vcc, v0, v3
	v_addc_co_u32_e32 v5, vcc, 0, v1, vcc
	global_load_ushort v6, v[0:1], off
	global_load_dword v7, v[4:5], off offset:2
	s_lshl_b64 s[0:1], s[6:7], 9
	s_add_u32 s0, s2, s0
	v_lshlrev_b32_e32 v0, 6, v2
	s_addc_u32 s1, s3, s1
	v_lshlrev_b32_e32 v1, 1, v3
	v_mov_b32_e32 v3, s1
	v_add_co_u32_e32 v0, vcc, s0, v0
	v_addc_co_u32_e32 v3, vcc, 0, v3, vcc
	v_add_co_u32_e32 v0, vcc, v0, v1
	v_addc_co_u32_e32 v1, vcc, 0, v3, vcc
	v_mov_b32_e32 v2, 4
	s_waitcnt vmcnt(1)
	v_cvt_f32_f16_e32 v3, v6
	s_waitcnt vmcnt(0)
	v_lshrrev_b32_e32 v4, 8, v7
	v_and_b32_e32 v5, 15, v7
	v_lshrrev_b16_e32 v8, 4, v7
	v_bfe_u32 v9, v7, 8, 4
	v_bfe_u32 v10, v7, 16, 4
	v_bfe_u32 v11, v7, 20, 4
	v_bfe_u32 v12, v7, 24, 4
	v_lshrrev_b16_sdwa v2, v2, v7 dst_sel:DWORD dst_unused:UNUSED_PAD src0_sel:DWORD src1_sel:BYTE_3
	v_lshrrev_b16_e32 v4, 4, v4
	v_cvt_f32_ubyte0_e32 v5, v5
	v_and_b32_e32 v7, 15, v8
	v_cvt_f32_ubyte0_e32 v8, v9
	v_cvt_f32_ubyte0_e32 v9, v10
	;; [unrolled: 1-line block ×5, first 2 shown]
	v_and_b32_e32 v2, 15, v4
	v_mul_f32_e32 v13, 0xc1000000, v3
	v_cvt_f32_ubyte0_e32 v7, v7
	v_cvt_f32_ubyte0_e32 v14, v2
	v_fma_mixlo_f16 v2, v6, v5, v13 op_sel_hi:[1,0,0]
	v_fma_mixlo_f16 v3, v6, v9, v13 op_sel_hi:[1,0,0]
	v_fma_mixlo_f16 v4, v6, v7, v13 op_sel_hi:[1,0,0]
	v_fma_mixlo_f16 v5, v6, v10, v13 op_sel_hi:[1,0,0]
	v_fma_mixhi_f16 v3, v6, v11, v13 op_sel_hi:[1,0,0]
	v_fma_mixhi_f16 v2, v6, v8, v13 op_sel_hi:[1,0,0]
	;; [unrolled: 1-line block ×4, first 2 shown]
	global_store_dwordx2 v[0:1], v[2:3], off
	global_store_dwordx2 v[0:1], v[4:5], off offset:32
.LBB2_2:
	s_endpgm
	.section	.rodata,"a",@progbits
	.p2align	6, 0x0
	.amdhsa_kernel _ZL21dequantize_block_q4_0I6__halfEvPKvPT_i
		.amdhsa_group_segment_fixed_size 0
		.amdhsa_private_segment_fixed_size 0
		.amdhsa_kernarg_size 20
		.amdhsa_user_sgpr_count 6
		.amdhsa_user_sgpr_private_segment_buffer 1
		.amdhsa_user_sgpr_dispatch_ptr 0
		.amdhsa_user_sgpr_queue_ptr 0
		.amdhsa_user_sgpr_kernarg_segment_ptr 1
		.amdhsa_user_sgpr_dispatch_id 0
		.amdhsa_user_sgpr_flat_scratch_init 0
		.amdhsa_user_sgpr_kernarg_preload_length 0
		.amdhsa_user_sgpr_kernarg_preload_offset 0
		.amdhsa_user_sgpr_private_segment_size 0
		.amdhsa_uses_dynamic_stack 0
		.amdhsa_system_sgpr_private_segment_wavefront_offset 0
		.amdhsa_system_sgpr_workgroup_id_x 1
		.amdhsa_system_sgpr_workgroup_id_y 0
		.amdhsa_system_sgpr_workgroup_id_z 0
		.amdhsa_system_sgpr_workgroup_info 0
		.amdhsa_system_vgpr_workitem_id 0
		.amdhsa_next_free_vgpr 15
		.amdhsa_next_free_sgpr 8
		.amdhsa_accum_offset 16
		.amdhsa_reserve_vcc 1
		.amdhsa_reserve_flat_scratch 0
		.amdhsa_float_round_mode_32 0
		.amdhsa_float_round_mode_16_64 0
		.amdhsa_float_denorm_mode_32 3
		.amdhsa_float_denorm_mode_16_64 3
		.amdhsa_dx10_clamp 1
		.amdhsa_ieee_mode 1
		.amdhsa_fp16_overflow 0
		.amdhsa_tg_split 0
		.amdhsa_exception_fp_ieee_invalid_op 0
		.amdhsa_exception_fp_denorm_src 0
		.amdhsa_exception_fp_ieee_div_zero 0
		.amdhsa_exception_fp_ieee_overflow 0
		.amdhsa_exception_fp_ieee_underflow 0
		.amdhsa_exception_fp_ieee_inexact 0
		.amdhsa_exception_int_div_zero 0
	.end_amdhsa_kernel
	.section	.text._ZL21dequantize_block_q4_0I6__halfEvPKvPT_i,"axG",@progbits,_ZL21dequantize_block_q4_0I6__halfEvPKvPT_i,comdat
.Lfunc_end2:
	.size	_ZL21dequantize_block_q4_0I6__halfEvPKvPT_i, .Lfunc_end2-_ZL21dequantize_block_q4_0I6__halfEvPKvPT_i
                                        ; -- End function
	.section	.AMDGPU.csdata,"",@progbits
; Kernel info:
; codeLenInByte = 356
; NumSgprs: 12
; NumVgprs: 15
; NumAgprs: 0
; TotalNumVgprs: 15
; ScratchSize: 0
; MemoryBound: 0
; FloatMode: 240
; IeeeMode: 1
; LDSByteSize: 0 bytes/workgroup (compile time only)
; SGPRBlocks: 1
; VGPRBlocks: 1
; NumSGPRsForWavesPerEU: 12
; NumVGPRsForWavesPerEU: 15
; AccumOffset: 16
; Occupancy: 8
; WaveLimiterHint : 0
; COMPUTE_PGM_RSRC2:SCRATCH_EN: 0
; COMPUTE_PGM_RSRC2:USER_SGPR: 6
; COMPUTE_PGM_RSRC2:TRAP_HANDLER: 0
; COMPUTE_PGM_RSRC2:TGID_X_EN: 1
; COMPUTE_PGM_RSRC2:TGID_Y_EN: 0
; COMPUTE_PGM_RSRC2:TGID_Z_EN: 0
; COMPUTE_PGM_RSRC2:TIDIG_COMP_CNT: 0
; COMPUTE_PGM_RSRC3_GFX90A:ACCUM_OFFSET: 3
; COMPUTE_PGM_RSRC3_GFX90A:TG_SPLIT: 0
	.section	.text._ZL21dequantize_block_q4_1I6__halfEvPKvPT_i,"axG",@progbits,_ZL21dequantize_block_q4_1I6__halfEvPKvPT_i,comdat
	.globl	_ZL21dequantize_block_q4_1I6__halfEvPKvPT_i ; -- Begin function _ZL21dequantize_block_q4_1I6__halfEvPKvPT_i
	.p2align	8
	.type	_ZL21dequantize_block_q4_1I6__halfEvPKvPT_i,@function
_ZL21dequantize_block_q4_1I6__halfEvPKvPT_i: ; @_ZL21dequantize_block_q4_1I6__halfEvPKvPT_i
; %bb.0:
	s_load_dword s0, s[4:5], 0x10
	s_mov_b32 s7, 0
	v_and_b32_e32 v2, 7, v0
	s_lshl_b64 s[2:3], s[6:7], 3
	v_mov_b32_e32 v5, s3
	s_waitcnt lgkmcnt(0)
	s_ashr_i32 s1, s0, 31
	v_or_b32_e32 v4, s2, v2
	v_cmp_gt_i64_e32 vcc, s[0:1], v[4:5]
	s_and_saveexec_b64 s[0:1], vcc
	s_cbranch_execz .LBB3_2
; %bb.1:
	s_load_dwordx4 s[0:3], s[4:5], 0x0
	v_lshrrev_b32_e32 v0, 1, v0
	v_and_b32_e32 v3, 0x1fc, v0
	s_waitcnt lgkmcnt(0)
	v_mad_u64_u32 v[0:1], s[0:1], v4, 20, s[0:1]
	v_mad_u32_u24 v1, v5, 20, v1
	v_add_co_u32_e32 v4, vcc, v0, v3
	v_addc_co_u32_e32 v5, vcc, 0, v1, vcc
	global_load_dword v6, v[4:5], off offset:4
	global_load_dword v7, v[0:1], off
	s_lshl_b64 s[0:1], s[6:7], 9
	s_add_u32 s0, s2, s0
	v_lshlrev_b32_e32 v0, 6, v2
	s_addc_u32 s1, s3, s1
	v_lshlrev_b32_e32 v1, 1, v3
	v_mov_b32_e32 v3, s1
	v_add_co_u32_e32 v0, vcc, s0, v0
	v_addc_co_u32_e32 v3, vcc, 0, v3, vcc
	v_add_co_u32_e32 v0, vcc, v0, v1
	v_mov_b32_e32 v2, 4
	v_addc_co_u32_e32 v1, vcc, 0, v3, vcc
	s_waitcnt vmcnt(1)
	v_lshrrev_b32_e32 v3, 8, v6
	v_and_b32_e32 v4, 15, v6
	v_lshrrev_b16_e32 v5, 4, v6
	v_bfe_u32 v8, v6, 8, 4
	v_bfe_u32 v9, v6, 16, 4
	;; [unrolled: 1-line block ×4, first 2 shown]
	v_lshrrev_b16_sdwa v2, v2, v6 dst_sel:DWORD dst_unused:UNUSED_PAD src0_sel:DWORD src1_sel:BYTE_3
	v_cvt_f32_ubyte0_e32 v4, v4
	v_and_b32_e32 v5, 15, v5
	v_lshrrev_b16_e32 v3, 4, v3
	v_cvt_f32_ubyte0_e32 v6, v8
	v_cvt_f32_ubyte0_e32 v8, v9
	v_cvt_f32_ubyte0_e32 v9, v10
	v_cvt_f32_ubyte0_e32 v10, v11
	v_cvt_f32_ubyte0_e32 v11, v2
	s_waitcnt vmcnt(0)
	v_fma_mixlo_f16 v2, v7, v4, v7 op_sel:[0,0,1] op_sel_hi:[1,0,1]
	v_cvt_f32_ubyte0_e32 v4, v5
	v_and_b32_e32 v12, 15, v3
	v_fma_mixlo_f16 v3, v7, v8, v7 op_sel:[0,0,1] op_sel_hi:[1,0,1]
	v_fma_mixlo_f16 v5, v7, v9, v7 op_sel:[0,0,1] op_sel_hi:[1,0,1]
	;; [unrolled: 1-line block ×3, first 2 shown]
	v_cvt_f32_ubyte0_e32 v8, v12
	v_fma_mixhi_f16 v3, v7, v10, v7 op_sel:[0,0,1] op_sel_hi:[1,0,1]
	v_fma_mixhi_f16 v2, v7, v6, v7 op_sel:[0,0,1] op_sel_hi:[1,0,1]
	;; [unrolled: 1-line block ×4, first 2 shown]
	global_store_dwordx2 v[0:1], v[2:3], off
	global_store_dwordx2 v[0:1], v[4:5], off offset:32
.LBB3_2:
	s_endpgm
	.section	.rodata,"a",@progbits
	.p2align	6, 0x0
	.amdhsa_kernel _ZL21dequantize_block_q4_1I6__halfEvPKvPT_i
		.amdhsa_group_segment_fixed_size 0
		.amdhsa_private_segment_fixed_size 0
		.amdhsa_kernarg_size 20
		.amdhsa_user_sgpr_count 6
		.amdhsa_user_sgpr_private_segment_buffer 1
		.amdhsa_user_sgpr_dispatch_ptr 0
		.amdhsa_user_sgpr_queue_ptr 0
		.amdhsa_user_sgpr_kernarg_segment_ptr 1
		.amdhsa_user_sgpr_dispatch_id 0
		.amdhsa_user_sgpr_flat_scratch_init 0
		.amdhsa_user_sgpr_kernarg_preload_length 0
		.amdhsa_user_sgpr_kernarg_preload_offset 0
		.amdhsa_user_sgpr_private_segment_size 0
		.amdhsa_uses_dynamic_stack 0
		.amdhsa_system_sgpr_private_segment_wavefront_offset 0
		.amdhsa_system_sgpr_workgroup_id_x 1
		.amdhsa_system_sgpr_workgroup_id_y 0
		.amdhsa_system_sgpr_workgroup_id_z 0
		.amdhsa_system_sgpr_workgroup_info 0
		.amdhsa_system_vgpr_workitem_id 0
		.amdhsa_next_free_vgpr 13
		.amdhsa_next_free_sgpr 8
		.amdhsa_accum_offset 16
		.amdhsa_reserve_vcc 1
		.amdhsa_reserve_flat_scratch 0
		.amdhsa_float_round_mode_32 0
		.amdhsa_float_round_mode_16_64 0
		.amdhsa_float_denorm_mode_32 3
		.amdhsa_float_denorm_mode_16_64 3
		.amdhsa_dx10_clamp 1
		.amdhsa_ieee_mode 1
		.amdhsa_fp16_overflow 0
		.amdhsa_tg_split 0
		.amdhsa_exception_fp_ieee_invalid_op 0
		.amdhsa_exception_fp_denorm_src 0
		.amdhsa_exception_fp_ieee_div_zero 0
		.amdhsa_exception_fp_ieee_overflow 0
		.amdhsa_exception_fp_ieee_underflow 0
		.amdhsa_exception_fp_ieee_inexact 0
		.amdhsa_exception_int_div_zero 0
	.end_amdhsa_kernel
	.section	.text._ZL21dequantize_block_q4_1I6__halfEvPKvPT_i,"axG",@progbits,_ZL21dequantize_block_q4_1I6__halfEvPKvPT_i,comdat
.Lfunc_end3:
	.size	_ZL21dequantize_block_q4_1I6__halfEvPKvPT_i, .Lfunc_end3-_ZL21dequantize_block_q4_1I6__halfEvPKvPT_i
                                        ; -- End function
	.section	.AMDGPU.csdata,"",@progbits
; Kernel info:
; codeLenInByte = 344
; NumSgprs: 12
; NumVgprs: 13
; NumAgprs: 0
; TotalNumVgprs: 13
; ScratchSize: 0
; MemoryBound: 0
; FloatMode: 240
; IeeeMode: 1
; LDSByteSize: 0 bytes/workgroup (compile time only)
; SGPRBlocks: 1
; VGPRBlocks: 1
; NumSGPRsForWavesPerEU: 12
; NumVGPRsForWavesPerEU: 13
; AccumOffset: 16
; Occupancy: 8
; WaveLimiterHint : 0
; COMPUTE_PGM_RSRC2:SCRATCH_EN: 0
; COMPUTE_PGM_RSRC2:USER_SGPR: 6
; COMPUTE_PGM_RSRC2:TRAP_HANDLER: 0
; COMPUTE_PGM_RSRC2:TGID_X_EN: 1
; COMPUTE_PGM_RSRC2:TGID_Y_EN: 0
; COMPUTE_PGM_RSRC2:TGID_Z_EN: 0
; COMPUTE_PGM_RSRC2:TIDIG_COMP_CNT: 0
; COMPUTE_PGM_RSRC3_GFX90A:ACCUM_OFFSET: 3
; COMPUTE_PGM_RSRC3_GFX90A:TG_SPLIT: 0
	.section	.text._ZL21dequantize_block_q2_KI6__halfEvPKvPT_,"axG",@progbits,_ZL21dequantize_block_q2_KI6__halfEvPKvPT_,comdat
	.globl	_ZL21dequantize_block_q2_KI6__halfEvPKvPT_ ; -- Begin function _ZL21dequantize_block_q2_KI6__halfEvPKvPT_
	.p2align	8
	.type	_ZL21dequantize_block_q2_KI6__halfEvPKvPT_,@function
_ZL21dequantize_block_q2_KI6__halfEvPKvPT_: ; @_ZL21dequantize_block_q2_KI6__halfEvPKvPT_
; %bb.0:
	s_load_dwordx4 s[0:3], s[4:5], 0x0
	s_mul_i32 s5, s6, 0x54
	v_lshrrev_b32_e32 v1, 5, v0
	v_bfe_u32 v2, v0, 4, 1
	s_mul_hi_u32 s4, s6, 0x54
	s_waitcnt lgkmcnt(0)
	s_add_u32 s0, s0, s5
	v_lshl_or_b32 v2, v1, 3, v2
	s_addc_u32 s1, s1, s4
	global_load_ubyte v3, v2, s[0:1]
	global_load_ubyte v4, v0, s[0:1] offset:16
	global_load_ubyte v5, v2, s[0:1] offset:2
	;; [unrolled: 1-line block ×4, first 2 shown]
	s_mov_b32 s7, 0
	s_load_dword s4, s[0:1], 0x50
	s_lshl_b64 s[0:1], s[6:7], 9
	s_add_u32 s0, s2, s0
	v_lshlrev_b32_e32 v1, 8, v1
	s_addc_u32 s1, s3, s1
	v_and_b32_e32 v0, 31, v0
	v_mov_b32_e32 v2, s1
	v_add_co_u32_e32 v1, vcc, s0, v1
	v_lshlrev_b32_e32 v0, 1, v0
	v_addc_co_u32_e32 v2, vcc, 0, v2, vcc
	v_add_co_u32_e32 v0, vcc, v1, v0
	s_waitcnt lgkmcnt(0)
	s_lshr_b32 s0, s4, 16
	v_addc_co_u32_e32 v1, vcc, 0, v2, vcc
	v_cvt_f32_f16_e32 v2, s4
	v_cvt_f32_f16_e32 v8, s0
	s_waitcnt vmcnt(4)
	v_and_b32_e32 v9, 15, v3
	v_lshrrev_b32_e32 v3, 4, v3
	s_waitcnt vmcnt(3)
	v_and_b32_e32 v10, 3, v4
	s_waitcnt vmcnt(2)
	v_and_b32_e32 v11, 15, v5
	v_lshrrev_b32_e32 v5, 4, v5
	s_waitcnt vmcnt(1)
	v_and_b32_e32 v13, 15, v6
	v_lshrrev_b32_e32 v6, 4, v6
	s_waitcnt vmcnt(0)
	v_and_b32_e32 v15, 15, v7
	v_lshrrev_b32_e32 v7, 4, v7
	v_cvt_f32_ubyte0_e32 v9, v9
	v_cvt_f32_ubyte0_e32 v3, v3
	v_bfe_u32 v12, v4, 2, 2
	v_bfe_u32 v14, v4, 4, 2
	v_lshrrev_b32_e32 v4, 6, v4
	v_cvt_f32_ubyte0_e32 v10, v10
	v_cvt_f32_ubyte0_e32 v11, v11
	;; [unrolled: 1-line block ×7, first 2 shown]
	v_mul_f32_e32 v9, v2, v9
	v_mul_f32_e32 v3, v8, v3
	v_cvt_f32_ubyte0_e32 v12, v12
	v_cvt_f32_ubyte0_e32 v14, v14
	;; [unrolled: 1-line block ×3, first 2 shown]
	v_mul_f32_e32 v11, v2, v11
	v_mul_f32_e32 v5, v8, v5
	;; [unrolled: 1-line block ×6, first 2 shown]
	v_fma_mixlo_f16 v3, v9, v10, -v3
	v_fma_mixlo_f16 v5, v11, v12, -v5
	;; [unrolled: 1-line block ×4, first 2 shown]
	global_store_short v[0:1], v3, off
	global_store_short v[0:1], v5, off offset:64
	global_store_short v[0:1], v6, off offset:128
	;; [unrolled: 1-line block ×3, first 2 shown]
	s_endpgm
	.section	.rodata,"a",@progbits
	.p2align	6, 0x0
	.amdhsa_kernel _ZL21dequantize_block_q2_KI6__halfEvPKvPT_
		.amdhsa_group_segment_fixed_size 0
		.amdhsa_private_segment_fixed_size 0
		.amdhsa_kernarg_size 16
		.amdhsa_user_sgpr_count 6
		.amdhsa_user_sgpr_private_segment_buffer 1
		.amdhsa_user_sgpr_dispatch_ptr 0
		.amdhsa_user_sgpr_queue_ptr 0
		.amdhsa_user_sgpr_kernarg_segment_ptr 1
		.amdhsa_user_sgpr_dispatch_id 0
		.amdhsa_user_sgpr_flat_scratch_init 0
		.amdhsa_user_sgpr_kernarg_preload_length 0
		.amdhsa_user_sgpr_kernarg_preload_offset 0
		.amdhsa_user_sgpr_private_segment_size 0
		.amdhsa_uses_dynamic_stack 0
		.amdhsa_system_sgpr_private_segment_wavefront_offset 0
		.amdhsa_system_sgpr_workgroup_id_x 1
		.amdhsa_system_sgpr_workgroup_id_y 0
		.amdhsa_system_sgpr_workgroup_id_z 0
		.amdhsa_system_sgpr_workgroup_info 0
		.amdhsa_system_vgpr_workitem_id 0
		.amdhsa_next_free_vgpr 16
		.amdhsa_next_free_sgpr 8
		.amdhsa_accum_offset 16
		.amdhsa_reserve_vcc 1
		.amdhsa_reserve_flat_scratch 0
		.amdhsa_float_round_mode_32 0
		.amdhsa_float_round_mode_16_64 0
		.amdhsa_float_denorm_mode_32 3
		.amdhsa_float_denorm_mode_16_64 3
		.amdhsa_dx10_clamp 1
		.amdhsa_ieee_mode 1
		.amdhsa_fp16_overflow 0
		.amdhsa_tg_split 0
		.amdhsa_exception_fp_ieee_invalid_op 0
		.amdhsa_exception_fp_denorm_src 0
		.amdhsa_exception_fp_ieee_div_zero 0
		.amdhsa_exception_fp_ieee_overflow 0
		.amdhsa_exception_fp_ieee_underflow 0
		.amdhsa_exception_fp_ieee_inexact 0
		.amdhsa_exception_int_div_zero 0
	.end_amdhsa_kernel
	.section	.text._ZL21dequantize_block_q2_KI6__halfEvPKvPT_,"axG",@progbits,_ZL21dequantize_block_q2_KI6__halfEvPKvPT_,comdat
.Lfunc_end4:
	.size	_ZL21dequantize_block_q2_KI6__halfEvPKvPT_, .Lfunc_end4-_ZL21dequantize_block_q2_KI6__halfEvPKvPT_
                                        ; -- End function
	.section	.AMDGPU.csdata,"",@progbits
; Kernel info:
; codeLenInByte = 392
; NumSgprs: 12
; NumVgprs: 16
; NumAgprs: 0
; TotalNumVgprs: 16
; ScratchSize: 0
; MemoryBound: 0
; FloatMode: 240
; IeeeMode: 1
; LDSByteSize: 0 bytes/workgroup (compile time only)
; SGPRBlocks: 1
; VGPRBlocks: 1
; NumSGPRsForWavesPerEU: 12
; NumVGPRsForWavesPerEU: 16
; AccumOffset: 16
; Occupancy: 8
; WaveLimiterHint : 0
; COMPUTE_PGM_RSRC2:SCRATCH_EN: 0
; COMPUTE_PGM_RSRC2:USER_SGPR: 6
; COMPUTE_PGM_RSRC2:TRAP_HANDLER: 0
; COMPUTE_PGM_RSRC2:TGID_X_EN: 1
; COMPUTE_PGM_RSRC2:TGID_Y_EN: 0
; COMPUTE_PGM_RSRC2:TGID_Z_EN: 0
; COMPUTE_PGM_RSRC2:TIDIG_COMP_CNT: 0
; COMPUTE_PGM_RSRC3_GFX90A:ACCUM_OFFSET: 3
; COMPUTE_PGM_RSRC3_GFX90A:TG_SPLIT: 0
	.section	.text._ZL21dequantize_block_q3_KI6__halfEvPKvPT_,"axG",@progbits,_ZL21dequantize_block_q3_KI6__halfEvPKvPT_,comdat
	.globl	_ZL21dequantize_block_q3_KI6__halfEvPKvPT_ ; -- Begin function _ZL21dequantize_block_q3_KI6__halfEvPKvPT_
	.p2align	8
	.type	_ZL21dequantize_block_q3_KI6__halfEvPKvPT_,@function
_ZL21dequantize_block_q3_KI6__halfEvPKvPT_: ; @_ZL21dequantize_block_q3_KI6__halfEvPKvPT_
; %bb.0:
	v_lshrrev_b32_e32 v1, 5, v0
	v_lshrrev_b32_e32 v4, 3, v0
	v_lshlrev_b32_e32 v3, 2, v1
	v_sub_co_u32_e32 v6, vcc, v4, v3
	s_load_dwordx4 s[0:3], s[4:5], 0x0
	v_lshrrev_b32_e32 v2, 2, v0
	v_subb_co_u32_e64 v7, s[4:5], 0, 0, vcc
	v_and_b32_e32 v5, 0xf8, v2
	v_lshlrev_b64 v[2:3], 1, v[6:7]
	v_add_co_u32_e32 v12, vcc, v2, v5
	v_bfe_u32 v8, v0, 2, 1
	v_addc_co_u32_e32 v13, vcc, 0, v3, vcc
	v_or_b32_e32 v10, v12, v8
	v_mov_b32_e32 v11, v13
	s_mov_b32 s7, 0
	v_cmp_lt_i64_e32 vcc, 3, v[10:11]
	s_mul_hi_u32 s12, s6, 0x6e
	s_mul_i32 s13, s6, 0x6e
                                        ; implicit-def: $vgpr3
                                        ; implicit-def: $vgpr5
	s_and_saveexec_b64 s[4:5], vcc
	s_xor_b64 s[4:5], exec, s[4:5]
	s_cbranch_execz .LBB5_10
; %bb.1:
	v_cmp_lt_u64_e32 vcc, 7, v[12:13]
                                        ; implicit-def: $vgpr3
                                        ; implicit-def: $vgpr5
	s_and_saveexec_b64 s[8:9], vcc
	s_xor_b64 s[8:9], exec, s[8:9]
	s_cbranch_execz .LBB5_7
; %bb.2:
	s_waitcnt lgkmcnt(0)
	s_add_u32 s10, s0, s13
	s_addc_u32 s11, s1, s12
	s_add_u32 s10, s10, 0x60
	s_addc_u32 s11, s11, 0
	v_mov_b32_e32 v3, s11
	v_add_co_u32_e32 v10, vcc, s10, v10
	v_addc_co_u32_e32 v11, vcc, v3, v11, vcc
	global_load_ubyte v3, v[10:11], off offset:-8
	v_cmp_lt_u64_e32 vcc, 11, v[12:13]
                                        ; implicit-def: $vgpr5
	s_waitcnt vmcnt(0)
	v_lshrrev_b16_e32 v3, 4, v3
	s_and_saveexec_b64 s[10:11], vcc
	s_xor_b64 s[10:11], exec, s[10:11]
	s_cbranch_execz .LBB5_4
; %bb.3:
	global_load_ubyte v5, v[10:11], off offset:-4
                                        ; implicit-def: $vgpr10_vgpr11
	s_waitcnt vmcnt(0)
	v_lshrrev_b16_e32 v5, 2, v5
.LBB5_4:
	s_andn2_saveexec_b64 s[10:11], s[10:11]
	s_cbranch_execz .LBB5_6
; %bb.5:
	global_load_ubyte v5, v[10:11], off
.LBB5_6:
	s_or_b64 exec, exec, s[10:11]
                                        ; implicit-def: $vgpr10_vgpr11
.LBB5_7:
	s_andn2_saveexec_b64 s[8:9], s[8:9]
	s_cbranch_execz .LBB5_9
; %bb.8:
	s_waitcnt lgkmcnt(0)
	s_add_u32 s10, s0, s13
	s_addc_u32 s11, s1, s12
	v_mov_b32_e32 v3, s11
	v_add_co_u32_e32 v10, vcc, s10, v10
	v_addc_co_u32_e32 v11, vcc, v3, v11, vcc
	global_load_ubyte v3, v[10:11], off offset:96
	global_load_ubyte v5, v[10:11], off offset:100
	s_waitcnt vmcnt(1)
	v_and_b32_e32 v3, 15, v3
	s_waitcnt vmcnt(0)
	v_lshlrev_b16_e32 v5, 2, v5
.LBB5_9:
	s_or_b64 exec, exec, s[8:9]
                                        ; implicit-def: $vgpr10_vgpr11
.LBB5_10:
	s_andn2_saveexec_b64 s[4:5], s[4:5]
	s_cbranch_execz .LBB5_12
; %bb.11:
	s_waitcnt lgkmcnt(0)
	s_add_u32 s8, s0, s13
	s_addc_u32 s9, s1, s12
	v_mov_b32_e32 v3, s9
	v_add_co_u32_e32 v10, vcc, s8, v10
	v_addc_co_u32_e32 v11, vcc, v3, v11, vcc
	global_load_ubyte v3, v[10:11], off offset:96
	global_load_ubyte v5, v[10:11], off offset:104
	s_waitcnt vmcnt(1)
	v_and_b32_e32 v3, 15, v3
	s_waitcnt vmcnt(0)
	v_lshlrev_b16_e32 v5, 4, v5
.LBB5_12:
	s_or_b64 exec, exec, s[4:5]
	s_waitcnt lgkmcnt(0)
	s_add_u32 s0, s0, s13
	v_lshlrev_b32_e32 v0, 2, v0
	s_addc_u32 s1, s1, s12
	v_lshlrev_b32_e32 v9, 5, v1
	v_and_b32_e32 v0, 12, v0
	v_mov_b32_e32 v11, s1
	v_add_co_u32_e32 v10, vcc, s0, v9
	v_lshl_or_b32 v0, v8, 4, v0
	v_addc_co_u32_e32 v11, vcc, 0, v11, vcc
	v_mov_b32_e32 v8, 0
	v_add_co_u32_e32 v12, vcc, v10, v0
	v_addc_co_u32_e32 v13, vcc, 0, v11, vcc
	global_load_ushort v14, v8, s[0:1] offset:108
	global_load_ubyte v15, v[12:13], off offset:32
	global_load_ubyte v16, v0, s[0:1]
	s_lshl_b64 s[4:5], s[6:7], 9
	s_waitcnt vmcnt(3)
	v_and_b32_e32 v12, 48, v5
	s_add_u32 s2, s2, s4
	v_mov_b32_e32 v13, 32
	v_lshlrev_b32_e32 v1, 8, v1
	v_or_b32_e32 v3, v12, v3
	s_addc_u32 s3, s3, s5
	v_sub_u32_sdwa v3, v3, v13 dst_sel:DWORD dst_unused:UNUSED_PAD src0_sel:BYTE_0 src1_sel:DWORD
	v_mov_b32_e32 v13, s3
	v_add_co_u32_e32 v1, vcc, s2, v1
	v_lshlrev_b32_e64 v9, v4, 1
	v_lshlrev_b64 v[4:5], 6, v[6:7]
	v_addc_co_u32_e32 v13, vcc, 0, v13, vcc
	v_add_co_u32_e32 v1, vcc, v1, v4
	v_addc_co_u32_e32 v5, vcc, v13, v5, vcc
	v_cvt_f32_i32_e32 v3, v3
	v_lshlrev_b32_e32 v7, 1, v0
	v_add_u32_e32 v6, 4, v0
	v_or_b32_e32 v12, 1, v0
	s_waitcnt vmcnt(2)
	v_cvt_f32_f16_e32 v13, v14
	s_waitcnt vmcnt(1)
	v_lshrrev_b32_e32 v4, v2, v15
	s_waitcnt vmcnt(0)
	v_and_b32_e32 v14, v9, v16
	v_cmp_eq_u32_e32 vcc, 0, v14
	v_cndmask_b32_e64 v14, 0, -4, vcc
	v_and_or_b32 v4, v4, 3, v14
	v_cvt_f32_i32_e32 v14, v4
	v_add_co_u32_e32 v4, vcc, v1, v7
	v_addc_co_u32_e32 v5, vcc, 0, v5, vcc
	v_mul_f32_e32 v1, v13, v3
	v_fma_mixlo_f16 v3, v1, v14, 0
	v_cmp_gt_u32_e32 vcc, v6, v12
	global_store_short v[4:5], v3, off
	s_and_saveexec_b64 s[2:3], vcc
	s_cbranch_execz .LBB5_14
; %bb.13:
	v_mov_b32_e32 v3, s1
	v_add_co_u32_e32 v6, vcc, s0, v0
	v_addc_co_u32_e32 v7, vcc, 0, v3, vcc
	v_add_co_u32_e32 v3, vcc, 32, v10
	v_addc_co_u32_e32 v12, vcc, 0, v11, vcc
	;; [unrolled: 2-line block ×3, first 2 shown]
	global_load_ubyte v13, v[10:11], off offset:1
	global_load_ubyte v14, v0, s[0:1] offset:1
	v_add_co_u32_e32 v10, vcc, v3, v0
	v_addc_co_u32_e32 v11, vcc, 0, v12, vcc
	global_load_ushort v0, v[10:11], off offset:2
	global_load_ushort v3, v[6:7], off offset:2
	s_waitcnt vmcnt(3)
	v_lshrrev_b32_e32 v7, v2, v13
	s_waitcnt vmcnt(2)
	v_and_b32_e32 v6, v9, v14
	v_cmp_eq_u32_e32 vcc, 0, v6
	v_cndmask_b32_e64 v6, 0, -4, vcc
	s_waitcnt vmcnt(1)
	v_lshrrev_b32_sdwa v10, v2, v0 dst_sel:DWORD dst_unused:UNUSED_PAD src0_sel:DWORD src1_sel:BYTE_0
	s_waitcnt vmcnt(0)
	v_and_b32_e32 v11, v3, v9
	v_lshrrev_b32_sdwa v0, v2, v0 dst_sel:DWORD dst_unused:UNUSED_PAD src0_sel:DWORD src1_sel:BYTE_1
	v_and_b32_sdwa v2, v9, v3 dst_sel:DWORD dst_unused:UNUSED_PAD src0_sel:DWORD src1_sel:BYTE_1
	v_cmp_eq_u32_sdwa s[0:1], v11, v8 src0_sel:BYTE_0 src1_sel:DWORD
	v_and_or_b32 v3, v7, 3, v6
	v_cndmask_b32_e64 v6, 0, -4, s[0:1]
	v_cmp_eq_u32_e32 vcc, 0, v2
	v_cndmask_b32_e64 v2, 0, -4, vcc
	v_and_or_b32 v6, v10, 3, v6
	v_and_or_b32 v0, v0, 3, v2
	v_cvt_f32_i32_e32 v2, v6
	v_cvt_f32_i32_e32 v3, v3
	;; [unrolled: 1-line block ×3, first 2 shown]
	v_fma_mixlo_f16 v2, v1, v2, 0
	v_fma_mixlo_f16 v3, v1, v3, 0
	v_fma_mixhi_f16 v2, v1, v0, 0
	global_store_short v[4:5], v3, off offset:2
	global_store_dword v[4:5], v2, off offset:4
.LBB5_14:
	s_endpgm
	.section	.rodata,"a",@progbits
	.p2align	6, 0x0
	.amdhsa_kernel _ZL21dequantize_block_q3_KI6__halfEvPKvPT_
		.amdhsa_group_segment_fixed_size 0
		.amdhsa_private_segment_fixed_size 0
		.amdhsa_kernarg_size 16
		.amdhsa_user_sgpr_count 6
		.amdhsa_user_sgpr_private_segment_buffer 1
		.amdhsa_user_sgpr_dispatch_ptr 0
		.amdhsa_user_sgpr_queue_ptr 0
		.amdhsa_user_sgpr_kernarg_segment_ptr 1
		.amdhsa_user_sgpr_dispatch_id 0
		.amdhsa_user_sgpr_flat_scratch_init 0
		.amdhsa_user_sgpr_kernarg_preload_length 0
		.amdhsa_user_sgpr_kernarg_preload_offset 0
		.amdhsa_user_sgpr_private_segment_size 0
		.amdhsa_uses_dynamic_stack 0
		.amdhsa_system_sgpr_private_segment_wavefront_offset 0
		.amdhsa_system_sgpr_workgroup_id_x 1
		.amdhsa_system_sgpr_workgroup_id_y 0
		.amdhsa_system_sgpr_workgroup_id_z 0
		.amdhsa_system_sgpr_workgroup_info 0
		.amdhsa_system_vgpr_workitem_id 0
		.amdhsa_next_free_vgpr 17
		.amdhsa_next_free_sgpr 14
		.amdhsa_accum_offset 20
		.amdhsa_reserve_vcc 1
		.amdhsa_reserve_flat_scratch 0
		.amdhsa_float_round_mode_32 0
		.amdhsa_float_round_mode_16_64 0
		.amdhsa_float_denorm_mode_32 3
		.amdhsa_float_denorm_mode_16_64 3
		.amdhsa_dx10_clamp 1
		.amdhsa_ieee_mode 1
		.amdhsa_fp16_overflow 0
		.amdhsa_tg_split 0
		.amdhsa_exception_fp_ieee_invalid_op 0
		.amdhsa_exception_fp_denorm_src 0
		.amdhsa_exception_fp_ieee_div_zero 0
		.amdhsa_exception_fp_ieee_overflow 0
		.amdhsa_exception_fp_ieee_underflow 0
		.amdhsa_exception_fp_ieee_inexact 0
		.amdhsa_exception_int_div_zero 0
	.end_amdhsa_kernel
	.section	.text._ZL21dequantize_block_q3_KI6__halfEvPKvPT_,"axG",@progbits,_ZL21dequantize_block_q3_KI6__halfEvPKvPT_,comdat
.Lfunc_end5:
	.size	_ZL21dequantize_block_q3_KI6__halfEvPKvPT_, .Lfunc_end5-_ZL21dequantize_block_q3_KI6__halfEvPKvPT_
                                        ; -- End function
	.section	.AMDGPU.csdata,"",@progbits
; Kernel info:
; codeLenInByte = 868
; NumSgprs: 18
; NumVgprs: 17
; NumAgprs: 0
; TotalNumVgprs: 17
; ScratchSize: 0
; MemoryBound: 0
; FloatMode: 240
; IeeeMode: 1
; LDSByteSize: 0 bytes/workgroup (compile time only)
; SGPRBlocks: 2
; VGPRBlocks: 2
; NumSGPRsForWavesPerEU: 18
; NumVGPRsForWavesPerEU: 17
; AccumOffset: 20
; Occupancy: 8
; WaveLimiterHint : 0
; COMPUTE_PGM_RSRC2:SCRATCH_EN: 0
; COMPUTE_PGM_RSRC2:USER_SGPR: 6
; COMPUTE_PGM_RSRC2:TRAP_HANDLER: 0
; COMPUTE_PGM_RSRC2:TGID_X_EN: 1
; COMPUTE_PGM_RSRC2:TGID_Y_EN: 0
; COMPUTE_PGM_RSRC2:TGID_Z_EN: 0
; COMPUTE_PGM_RSRC2:TIDIG_COMP_CNT: 0
; COMPUTE_PGM_RSRC3_GFX90A:ACCUM_OFFSET: 4
; COMPUTE_PGM_RSRC3_GFX90A:TG_SPLIT: 0
	.section	.text._ZL21dequantize_block_q4_KI6__halfEvPKvPT_,"axG",@progbits,_ZL21dequantize_block_q4_KI6__halfEvPKvPT_,comdat
	.globl	_ZL21dequantize_block_q4_KI6__halfEvPKvPT_ ; -- Begin function _ZL21dequantize_block_q4_KI6__halfEvPKvPT_
	.p2align	8
	.type	_ZL21dequantize_block_q4_KI6__halfEvPKvPT_,@function
_ZL21dequantize_block_q4_KI6__halfEvPKvPT_: ; @_ZL21dequantize_block_q4_KI6__halfEvPKvPT_
; %bb.0:
	s_load_dwordx2 s[0:1], s[4:5], 0x0
	s_mul_i32 s3, s6, 0x90
	v_lshrrev_b32_e32 v1, 3, v0
	s_mul_hi_u32 s2, s6, 0x90
	v_lshlrev_b32_e32 v4, 1, v1
	s_waitcnt lgkmcnt(0)
	s_add_u32 s8, s0, s3
	s_addc_u32 s9, s1, s2
	v_mov_b32_e32 v3, s9
	v_add_co_u32_e64 v2, s[0:1], s8, v4
	s_mov_b32 s7, 0
	v_cmp_lt_u32_e32 vcc, 15, v0
	v_addc_co_u32_e64 v3, s[0:1], 0, v3, s[0:1]
                                        ; implicit-def: $vgpr7
                                        ; implicit-def: $vgpr6
	s_and_saveexec_b64 s[0:1], vcc
	s_xor_b64 s[0:1], exec, s[0:1]
	s_cbranch_execz .LBB6_2
; %bb.1:
	global_load_ubyte v5, v[2:3], off offset:8
	global_load_ubyte v6, v[2:3], off
	global_load_ubyte v7, v[2:3], off offset:4
	s_waitcnt vmcnt(2)
	v_and_b32_e32 v8, 15, v5
	s_waitcnt vmcnt(1)
	v_lshrrev_b16_e32 v6, 2, v6
	s_waitcnt vmcnt(0)
	v_lshrrev_b16_e32 v7, 2, v7
	v_lshrrev_b16_e32 v5, 4, v5
	v_and_b32_e32 v6, 48, v6
	v_and_b32_e32 v7, 48, v7
	v_or_b32_e32 v6, v6, v8
	v_or_b32_e32 v7, v7, v5
.LBB6_2:
	s_andn2_saveexec_b64 s[0:1], s[0:1]
	s_cbranch_execz .LBB6_4
; %bb.3:
	global_load_ubyte v5, v[2:3], off offset:4
	global_load_ubyte v7, v[2:3], off offset:8
	s_waitcnt vmcnt(1)
	v_and_b32_e32 v6, 63, v5
	s_waitcnt vmcnt(0)
	v_and_b32_e32 v7, 63, v7
.LBB6_4:
	s_or_b64 exec, exec, s[0:1]
	s_load_dwordx2 s[2:3], s[4:5], 0x8
	s_load_dword s10, s[8:9], 0x0
	s_add_u32 s0, s8, 4
	s_addc_u32 s1, s9, 0
	v_mov_b32_e32 v5, s1
	v_add_co_u32_e64 v4, s[0:1], s0, v4
	v_addc_co_u32_e64 v5, s[0:1], 0, v5, s[0:1]
                                        ; implicit-def: $vgpr9
                                        ; implicit-def: $vgpr8
	s_and_saveexec_b64 s[0:1], vcc
	s_xor_b64 s[0:1], exec, s[0:1]
	s_cbranch_execz .LBB6_6
; %bb.5:
	global_load_ubyte v8, v[4:5], off offset:5
	global_load_ubyte v9, v[4:5], off offset:-3
	global_load_ubyte v10, v[4:5], off offset:1
	s_waitcnt vmcnt(2)
	v_and_b32_e32 v4, 15, v8
	s_waitcnt vmcnt(1)
	v_lshrrev_b16_e32 v5, 2, v9
	v_lshrrev_b16_e32 v9, 4, v8
	s_waitcnt vmcnt(0)
	v_lshrrev_b16_e32 v8, 2, v10
	v_and_b32_e32 v5, 48, v5
	v_and_b32_e32 v10, 48, v8
	v_or_b32_e32 v8, v5, v4
	v_or_b32_e32 v9, v10, v9
                                        ; implicit-def: $vgpr4_vgpr5
.LBB6_6:
	s_andn2_saveexec_b64 s[0:1], s[0:1]
	s_cbranch_execz .LBB6_8
; %bb.7:
	global_load_ubyte v8, v[4:5], off offset:1
	global_load_ubyte v9, v[4:5], off offset:5
	s_waitcnt vmcnt(1)
	v_and_b32_e32 v8, 63, v8
	s_waitcnt vmcnt(0)
	v_and_b32_e32 v9, 63, v9
.LBB6_8:
	s_or_b64 exec, exec, s[0:1]
	v_lshlrev_b32_e32 v0, 2, v0
	v_mad_u64_u32 v[2:3], s[0:1], v1, 30, v[2:3]
	v_and_b32_e32 v0, 28, v0
	v_add_co_u32_e32 v2, vcc, v2, v0
	v_addc_co_u32_e32 v3, vcc, 0, v3, vcc
	global_load_dword v2, v[2:3], off offset:16
	s_waitcnt lgkmcnt(0)
	s_lshr_b32 s4, s10, 16
	v_cvt_f32_f16_e32 v4, s10
	s_lshl_b64 s[0:1], s[6:7], 9
	s_add_u32 s0, s2, s0
	v_cvt_f32_ubyte0_e32 v3, v7
	v_lshlrev_b32_e32 v1, 7, v1
	v_cvt_f32_ubyte0_e32 v7, v9
	v_cvt_f32_f16_e32 v9, s4
	s_addc_u32 s1, s3, s1
	v_cvt_f32_ubyte0_e32 v5, v6
	v_mov_b32_e32 v10, s1
	v_add_co_u32_e32 v1, vcc, s0, v1
	v_lshlrev_b32_e32 v0, 1, v0
	v_mul_f32_e32 v11, v4, v5
	v_addc_co_u32_e32 v5, vcc, 0, v10, vcc
	v_cvt_f32_ubyte0_e32 v6, v8
	v_add_co_u32_e32 v0, vcc, v1, v0
	v_mov_b32_e32 v8, 4
	v_mul_f32_e32 v6, v4, v6
	v_mul_f32_e32 v10, v9, v3
	v_addc_co_u32_e32 v1, vcc, 0, v5, vcc
	v_mul_f32_e32 v7, v9, v7
	s_waitcnt vmcnt(0)
	v_lshrrev_b32_e32 v3, 8, v2
	v_and_b32_e32 v4, 15, v2
	v_lshrrev_b16_e32 v5, 4, v2
	v_bfe_u32 v9, v2, 8, 4
	v_bfe_u32 v12, v2, 16, 4
	;; [unrolled: 1-line block ×4, first 2 shown]
	v_lshrrev_b16_sdwa v2, v8, v2 dst_sel:DWORD dst_unused:UNUSED_PAD src0_sel:DWORD src1_sel:BYTE_3
	v_cvt_f32_ubyte0_e32 v4, v4
	v_and_b32_e32 v5, 15, v5
	v_lshrrev_b16_e32 v3, 4, v3
	v_cvt_f32_ubyte0_e32 v8, v9
	v_cvt_f32_ubyte0_e32 v9, v12
	;; [unrolled: 1-line block ×5, first 2 shown]
	v_fma_mixlo_f16 v2, v11, v4, -v10
	v_cvt_f32_ubyte0_e32 v4, v5
	v_and_b32_e32 v15, 15, v3
	v_fma_mixlo_f16 v3, v11, v9, -v10
	v_fma_mixlo_f16 v5, v6, v12, -v7
	;; [unrolled: 1-line block ×3, first 2 shown]
	v_cvt_f32_ubyte0_e32 v9, v15
	v_fma_mixhi_f16 v3, v11, v13, -v10
	v_fma_mixhi_f16 v2, v11, v8, -v10
	;; [unrolled: 1-line block ×4, first 2 shown]
	global_store_dwordx2 v[0:1], v[2:3], off
	global_store_dwordx2 v[0:1], v[4:5], off offset:64
	s_endpgm
	.section	.rodata,"a",@progbits
	.p2align	6, 0x0
	.amdhsa_kernel _ZL21dequantize_block_q4_KI6__halfEvPKvPT_
		.amdhsa_group_segment_fixed_size 0
		.amdhsa_private_segment_fixed_size 0
		.amdhsa_kernarg_size 16
		.amdhsa_user_sgpr_count 6
		.amdhsa_user_sgpr_private_segment_buffer 1
		.amdhsa_user_sgpr_dispatch_ptr 0
		.amdhsa_user_sgpr_queue_ptr 0
		.amdhsa_user_sgpr_kernarg_segment_ptr 1
		.amdhsa_user_sgpr_dispatch_id 0
		.amdhsa_user_sgpr_flat_scratch_init 0
		.amdhsa_user_sgpr_kernarg_preload_length 0
		.amdhsa_user_sgpr_kernarg_preload_offset 0
		.amdhsa_user_sgpr_private_segment_size 0
		.amdhsa_uses_dynamic_stack 0
		.amdhsa_system_sgpr_private_segment_wavefront_offset 0
		.amdhsa_system_sgpr_workgroup_id_x 1
		.amdhsa_system_sgpr_workgroup_id_y 0
		.amdhsa_system_sgpr_workgroup_id_z 0
		.amdhsa_system_sgpr_workgroup_info 0
		.amdhsa_system_vgpr_workitem_id 0
		.amdhsa_next_free_vgpr 16
		.amdhsa_next_free_sgpr 11
		.amdhsa_accum_offset 16
		.amdhsa_reserve_vcc 1
		.amdhsa_reserve_flat_scratch 0
		.amdhsa_float_round_mode_32 0
		.amdhsa_float_round_mode_16_64 0
		.amdhsa_float_denorm_mode_32 3
		.amdhsa_float_denorm_mode_16_64 3
		.amdhsa_dx10_clamp 1
		.amdhsa_ieee_mode 1
		.amdhsa_fp16_overflow 0
		.amdhsa_tg_split 0
		.amdhsa_exception_fp_ieee_invalid_op 0
		.amdhsa_exception_fp_denorm_src 0
		.amdhsa_exception_fp_ieee_div_zero 0
		.amdhsa_exception_fp_ieee_overflow 0
		.amdhsa_exception_fp_ieee_underflow 0
		.amdhsa_exception_fp_ieee_inexact 0
		.amdhsa_exception_int_div_zero 0
	.end_amdhsa_kernel
	.section	.text._ZL21dequantize_block_q4_KI6__halfEvPKvPT_,"axG",@progbits,_ZL21dequantize_block_q4_KI6__halfEvPKvPT_,comdat
.Lfunc_end6:
	.size	_ZL21dequantize_block_q4_KI6__halfEvPKvPT_, .Lfunc_end6-_ZL21dequantize_block_q4_KI6__halfEvPKvPT_
                                        ; -- End function
	.section	.AMDGPU.csdata,"",@progbits
; Kernel info:
; codeLenInByte = 672
; NumSgprs: 15
; NumVgprs: 16
; NumAgprs: 0
; TotalNumVgprs: 16
; ScratchSize: 0
; MemoryBound: 0
; FloatMode: 240
; IeeeMode: 1
; LDSByteSize: 0 bytes/workgroup (compile time only)
; SGPRBlocks: 1
; VGPRBlocks: 1
; NumSGPRsForWavesPerEU: 15
; NumVGPRsForWavesPerEU: 16
; AccumOffset: 16
; Occupancy: 8
; WaveLimiterHint : 0
; COMPUTE_PGM_RSRC2:SCRATCH_EN: 0
; COMPUTE_PGM_RSRC2:USER_SGPR: 6
; COMPUTE_PGM_RSRC2:TRAP_HANDLER: 0
; COMPUTE_PGM_RSRC2:TGID_X_EN: 1
; COMPUTE_PGM_RSRC2:TGID_Y_EN: 0
; COMPUTE_PGM_RSRC2:TGID_Z_EN: 0
; COMPUTE_PGM_RSRC2:TIDIG_COMP_CNT: 0
; COMPUTE_PGM_RSRC3_GFX90A:ACCUM_OFFSET: 3
; COMPUTE_PGM_RSRC3_GFX90A:TG_SPLIT: 0
	.section	.text._ZL21dequantize_block_q5_KI6__halfEvPKvPT_,"axG",@progbits,_ZL21dequantize_block_q5_KI6__halfEvPKvPT_,comdat
	.globl	_ZL21dequantize_block_q5_KI6__halfEvPKvPT_ ; -- Begin function _ZL21dequantize_block_q5_KI6__halfEvPKvPT_
	.p2align	8
	.type	_ZL21dequantize_block_q5_KI6__halfEvPKvPT_,@function
_ZL21dequantize_block_q5_KI6__halfEvPKvPT_: ; @_ZL21dequantize_block_q5_KI6__halfEvPKvPT_
; %bb.0:
	s_load_dwordx2 s[0:1], s[4:5], 0x0
	s_mul_i32 s2, s6, 0xb0
	v_lshrrev_b32_e32 v1, 4, v0
	s_mul_hi_u32 s3, s6, 0xb0
	v_lshlrev_b32_e32 v2, 1, v1
	s_waitcnt lgkmcnt(0)
	s_add_u32 s2, s0, s2
	s_addc_u32 s3, s1, s3
	v_mov_b32_e32 v3, s3
	v_add_co_u32_e64 v4, s[0:1], s2, v2
	s_mov_b32 s7, 0
	v_cmp_lt_u32_e32 vcc, 31, v0
	v_addc_co_u32_e64 v5, s[0:1], 0, v3, s[0:1]
                                        ; implicit-def: $vgpr8
                                        ; implicit-def: $vgpr3
	s_and_saveexec_b64 s[0:1], vcc
	s_xor_b64 s[0:1], exec, s[0:1]
	s_cbranch_execz .LBB7_2
; %bb.1:
	global_load_ubyte v3, v[4:5], off offset:8
	global_load_ubyte v6, v[4:5], off
	global_load_ubyte v7, v[4:5], off offset:4
	s_waitcnt vmcnt(2)
	v_and_b32_e32 v8, 15, v3
	s_waitcnt vmcnt(1)
	v_lshrrev_b16_e32 v6, 2, v6
	v_lshrrev_b16_e32 v9, 4, v3
	s_waitcnt vmcnt(0)
	v_lshrrev_b16_e32 v3, 2, v7
	v_and_b32_e32 v6, 48, v6
	v_and_b32_e32 v7, 48, v3
	v_or_b32_e32 v3, v6, v8
	v_or_b32_e32 v8, v7, v9
.LBB7_2:
	s_andn2_saveexec_b64 s[0:1], s[0:1]
	s_cbranch_execz .LBB7_4
; %bb.3:
	global_load_ubyte v3, v[4:5], off offset:4
	global_load_ubyte v6, v[4:5], off offset:8
	s_waitcnt vmcnt(1)
	v_and_b32_e32 v3, 63, v3
	s_waitcnt vmcnt(0)
	v_and_b32_e32 v8, 63, v6
.LBB7_4:
	s_or_b64 exec, exec, s[0:1]
	s_load_dwordx2 s[8:9], s[4:5], 0x8
	s_load_dword s10, s[2:3], 0x0
	s_add_u32 s0, s2, 4
	s_addc_u32 s1, s3, 0
	v_mov_b32_e32 v7, s1
	v_add_co_u32_e64 v6, s[0:1], s0, v2
	v_addc_co_u32_e64 v7, s[0:1], 0, v7, s[0:1]
                                        ; implicit-def: $vgpr10
                                        ; implicit-def: $vgpr9
	s_and_saveexec_b64 s[0:1], vcc
	s_xor_b64 s[0:1], exec, s[0:1]
	s_cbranch_execz .LBB7_6
; %bb.5:
	global_load_ubyte v9, v[6:7], off offset:5
	global_load_ubyte v10, v[6:7], off offset:-3
	global_load_ubyte v11, v[6:7], off offset:1
	s_waitcnt vmcnt(2)
	v_and_b32_e32 v6, 15, v9
	s_waitcnt vmcnt(1)
	v_lshrrev_b16_e32 v7, 2, v10
	v_lshrrev_b16_e32 v10, 4, v9
	s_waitcnt vmcnt(0)
	v_lshrrev_b16_e32 v9, 2, v11
	v_and_b32_e32 v7, 48, v7
	v_and_b32_e32 v11, 48, v9
	v_or_b32_e32 v9, v7, v6
	v_or_b32_e32 v10, v11, v10
                                        ; implicit-def: $vgpr6_vgpr7
.LBB7_6:
	s_andn2_saveexec_b64 s[0:1], s[0:1]
	s_cbranch_execz .LBB7_8
; %bb.7:
	global_load_ubyte v9, v[6:7], off offset:1
	global_load_ubyte v10, v[6:7], off offset:5
	s_waitcnt vmcnt(1)
	v_and_b32_e32 v9, 63, v9
	s_waitcnt vmcnt(0)
	v_and_b32_e32 v10, 63, v10
.LBB7_8:
	s_or_b64 exec, exec, s[0:1]
	v_lshlrev_b32_e32 v0, 1, v0
	v_and_b32_e32 v0, 30, v0
	v_mad_u64_u32 v[4:5], s[0:1], v1, 30, v[4:5]
	v_add_co_u32_e32 v4, vcc, v4, v0
	v_addc_co_u32_e32 v5, vcc, 0, v5, vcc
	global_load_ushort v6, v[4:5], off offset:48
	global_load_ushort v7, v0, s[2:3] offset:16
	s_waitcnt lgkmcnt(0)
	s_lshr_b32 s2, s10, 16
	s_lshl_b64 s[0:1], s[6:7], 9
	s_add_u32 s0, s8, s0
	v_cvt_f32_f16_e32 v5, s10
	v_lshlrev_b32_e32 v1, 7, v1
	v_cvt_f32_f16_e32 v12, s2
	s_addc_u32 s1, s9, s1
	v_mov_b32_e32 v13, s1
	v_add_co_u32_e32 v1, vcc, s0, v1
	v_lshlrev_b32_e32 v0, 1, v0
	v_addc_co_u32_e32 v13, vcc, 0, v13, vcc
	v_cvt_f32_ubyte0_e32 v4, v8
	v_cvt_f32_ubyte0_e32 v3, v3
	;; [unrolled: 1-line block ×4, first 2 shown]
	v_lshlrev_b32_e64 v10, v2, 1
	v_add_co_u32_e32 v0, vcc, v1, v0
	v_mul_f32_e32 v3, v5, v3
	v_mul_f32_e32 v5, v5, v8
	;; [unrolled: 1-line block ×3, first 2 shown]
	v_addc_co_u32_e32 v1, vcc, 0, v13, vcc
	v_mul_f32_e32 v8, v12, v9
	v_lshlrev_b32_e64 v2, v2, 2
	v_mov_b32_e32 v11, 15
	s_waitcnt vmcnt(1)
	v_lshrrev_b16_e32 v13, 4, v6
	s_waitcnt vmcnt(0)
	v_and_b32_sdwa v12, v10, v7 dst_sel:DWORD dst_unused:UNUSED_PAD src0_sel:DWORD src1_sel:BYTE_0
	v_and_b32_sdwa v10, v10, v7 dst_sel:DWORD dst_unused:UNUSED_PAD src0_sel:DWORD src1_sel:BYTE_1
	v_cmp_ne_u32_e32 vcc, 0, v12
	v_and_b32_sdwa v14, v2, v7 dst_sel:DWORD dst_unused:UNUSED_PAD src0_sel:DWORD src1_sel:BYTE_0
	v_and_b32_sdwa v2, v2, v7 dst_sel:DWORD dst_unused:UNUSED_PAD src0_sel:DWORD src1_sel:BYTE_1
	v_cndmask_b32_e64 v7, 0, 1, vcc
	v_cmp_ne_u32_e32 vcc, 0, v10
	v_cndmask_b32_e64 v10, 0, 1, vcc
	v_cmp_ne_u32_e32 vcc, 0, v14
	v_and_b32_e32 v9, 15, v6
	v_and_b32_e32 v12, 15, v13
	v_cndmask_b32_e64 v13, 0, 1, vcc
	v_cmp_ne_u32_e32 vcc, 0, v2
	v_and_b32_sdwa v11, v6, v11 dst_sel:DWORD dst_unused:UNUSED_PAD src0_sel:BYTE_1 src1_sel:DWORD
	v_lshrrev_b16_e32 v6, 12, v6
	v_cndmask_b32_e64 v2, 0, 1, vcc
	v_lshl_or_b32 v7, v7, 4, v9
	v_lshl_or_b32 v9, v10, 4, v11
	;; [unrolled: 1-line block ×4, first 2 shown]
	v_cvt_f32_ubyte0_e32 v6, v7
	v_cvt_f32_ubyte0_e32 v7, v9
	;; [unrolled: 1-line block ×3, first 2 shown]
	v_fma_mixlo_f16 v6, v3, v6, -v4
	v_cvt_f32_ubyte0_e32 v2, v2
	v_fma_mixlo_f16 v9, v5, v9, -v8
	v_fma_mixhi_f16 v6, v3, v7, -v4
	v_fma_mixhi_f16 v9, v5, v2, -v8
	global_store_dword v[0:1], v6, off
	global_store_dword v[0:1], v9, off offset:64
	s_endpgm
	.section	.rodata,"a",@progbits
	.p2align	6, 0x0
	.amdhsa_kernel _ZL21dequantize_block_q5_KI6__halfEvPKvPT_
		.amdhsa_group_segment_fixed_size 0
		.amdhsa_private_segment_fixed_size 0
		.amdhsa_kernarg_size 16
		.amdhsa_user_sgpr_count 6
		.amdhsa_user_sgpr_private_segment_buffer 1
		.amdhsa_user_sgpr_dispatch_ptr 0
		.amdhsa_user_sgpr_queue_ptr 0
		.amdhsa_user_sgpr_kernarg_segment_ptr 1
		.amdhsa_user_sgpr_dispatch_id 0
		.amdhsa_user_sgpr_flat_scratch_init 0
		.amdhsa_user_sgpr_kernarg_preload_length 0
		.amdhsa_user_sgpr_kernarg_preload_offset 0
		.amdhsa_user_sgpr_private_segment_size 0
		.amdhsa_uses_dynamic_stack 0
		.amdhsa_system_sgpr_private_segment_wavefront_offset 0
		.amdhsa_system_sgpr_workgroup_id_x 1
		.amdhsa_system_sgpr_workgroup_id_y 0
		.amdhsa_system_sgpr_workgroup_id_z 0
		.amdhsa_system_sgpr_workgroup_info 0
		.amdhsa_system_vgpr_workitem_id 0
		.amdhsa_next_free_vgpr 15
		.amdhsa_next_free_sgpr 11
		.amdhsa_accum_offset 16
		.amdhsa_reserve_vcc 1
		.amdhsa_reserve_flat_scratch 0
		.amdhsa_float_round_mode_32 0
		.amdhsa_float_round_mode_16_64 0
		.amdhsa_float_denorm_mode_32 3
		.amdhsa_float_denorm_mode_16_64 3
		.amdhsa_dx10_clamp 1
		.amdhsa_ieee_mode 1
		.amdhsa_fp16_overflow 0
		.amdhsa_tg_split 0
		.amdhsa_exception_fp_ieee_invalid_op 0
		.amdhsa_exception_fp_denorm_src 0
		.amdhsa_exception_fp_ieee_div_zero 0
		.amdhsa_exception_fp_ieee_overflow 0
		.amdhsa_exception_fp_ieee_underflow 0
		.amdhsa_exception_fp_ieee_inexact 0
		.amdhsa_exception_int_div_zero 0
	.end_amdhsa_kernel
	.section	.text._ZL21dequantize_block_q5_KI6__halfEvPKvPT_,"axG",@progbits,_ZL21dequantize_block_q5_KI6__halfEvPKvPT_,comdat
.Lfunc_end7:
	.size	_ZL21dequantize_block_q5_KI6__halfEvPKvPT_, .Lfunc_end7-_ZL21dequantize_block_q5_KI6__halfEvPKvPT_
                                        ; -- End function
	.section	.AMDGPU.csdata,"",@progbits
; Kernel info:
; codeLenInByte = 724
; NumSgprs: 15
; NumVgprs: 15
; NumAgprs: 0
; TotalNumVgprs: 15
; ScratchSize: 0
; MemoryBound: 0
; FloatMode: 240
; IeeeMode: 1
; LDSByteSize: 0 bytes/workgroup (compile time only)
; SGPRBlocks: 1
; VGPRBlocks: 1
; NumSGPRsForWavesPerEU: 15
; NumVGPRsForWavesPerEU: 15
; AccumOffset: 16
; Occupancy: 8
; WaveLimiterHint : 0
; COMPUTE_PGM_RSRC2:SCRATCH_EN: 0
; COMPUTE_PGM_RSRC2:USER_SGPR: 6
; COMPUTE_PGM_RSRC2:TRAP_HANDLER: 0
; COMPUTE_PGM_RSRC2:TGID_X_EN: 1
; COMPUTE_PGM_RSRC2:TGID_Y_EN: 0
; COMPUTE_PGM_RSRC2:TGID_Z_EN: 0
; COMPUTE_PGM_RSRC2:TIDIG_COMP_CNT: 0
; COMPUTE_PGM_RSRC3_GFX90A:ACCUM_OFFSET: 3
; COMPUTE_PGM_RSRC3_GFX90A:TG_SPLIT: 0
	.section	.text._ZL21dequantize_block_q6_KI6__halfEvPKvPT_,"axG",@progbits,_ZL21dequantize_block_q6_KI6__halfEvPKvPT_,comdat
	.globl	_ZL21dequantize_block_q6_KI6__halfEvPKvPT_ ; -- Begin function _ZL21dequantize_block_q6_KI6__halfEvPKvPT_
	.p2align	8
	.type	_ZL21dequantize_block_q6_KI6__halfEvPKvPT_,@function
_ZL21dequantize_block_q6_KI6__halfEvPKvPT_: ; @_ZL21dequantize_block_q6_KI6__halfEvPKvPT_
; %bb.0:
	s_load_dwordx4 s[0:3], s[4:5], 0x0
	s_mov_b32 s7, 0
	s_lshl_b64 s[4:5], s[6:7], 9
	v_lshrrev_b32_e32 v2, 5, v0
	v_mov_b32_e32 v1, 0
	s_waitcnt lgkmcnt(0)
	s_add_u32 s2, s2, s4
	s_addc_u32 s3, s3, s5
	s_mul_i32 s5, s6, 0xd2
	s_mul_hi_u32 s4, s6, 0xd2
	s_add_u32 s0, s0, s5
	s_addc_u32 s1, s1, s4
	v_bfe_u32 v4, v0, 4, 1
	global_load_ushort v5, v1, s[0:1] offset:208
	v_lshlrev_b32_e32 v1, 6, v2
	v_and_b32_e32 v3, 31, v0
	v_lshl_or_b32 v4, v2, 3, v4
	v_mov_b32_e32 v6, s1
	global_load_ubyte v7, v0, s[0:1] offset:128
	global_load_sbyte v8, v4, s[0:1] offset:192
	global_load_sbyte v9, v4, s[0:1] offset:194
	;; [unrolled: 1-line block ×3, first 2 shown]
	v_add_co_u32_e32 v0, vcc, s0, v1
	v_addc_co_u32_e32 v1, vcc, 0, v6, vcc
	v_add_co_u32_e32 v0, vcc, v0, v3
	v_addc_co_u32_e32 v1, vcc, 0, v1, vcc
	global_load_ubyte v6, v[0:1], off
	global_load_ubyte v11, v[0:1], off offset:32
	global_load_sbyte v12, v4, s[0:1] offset:198
	v_lshlrev_b32_e32 v0, 8, v2
	v_mov_b32_e32 v2, s3
	v_add_co_u32_e32 v0, vcc, s2, v0
	v_lshlrev_b32_e32 v1, 1, v3
	v_addc_co_u32_e32 v2, vcc, 0, v2, vcc
	v_add_co_u32_e32 v0, vcc, v0, v1
	v_addc_co_u32_e32 v1, vcc, 0, v2, vcc
	v_mov_b32_e32 v4, 32
	s_waitcnt vmcnt(7)
	v_cvt_f32_f16_e32 v2, v5
	s_waitcnt vmcnt(6)
	v_lshlrev_b16_e32 v5, 4, v7
	s_waitcnt vmcnt(5)
	v_cvt_f32_i32_e32 v3, v8
	s_waitcnt vmcnt(4)
	v_cvt_f32_i32_e32 v8, v9
	v_lshlrev_b16_e32 v9, 2, v7
	v_and_b32_e32 v13, 48, v7
	v_lshrrev_b16_e32 v7, 2, v7
	v_and_b32_e32 v5, 48, v5
	v_and_b32_e32 v9, 48, v9
	;; [unrolled: 1-line block ×3, first 2 shown]
	s_waitcnt vmcnt(3)
	v_cvt_f32_i32_e32 v10, v10
	s_waitcnt vmcnt(2)
	v_and_b32_e32 v14, 15, v6
	s_waitcnt vmcnt(1)
	v_and_b32_e32 v15, 15, v11
	v_lshrrev_b16_e32 v6, 4, v6
	v_lshrrev_b16_e32 v11, 4, v11
	v_or_b32_e32 v5, v14, v5
	v_or_b32_e32 v9, v15, v9
	;; [unrolled: 1-line block ×4, first 2 shown]
	v_sub_u32_sdwa v5, v5, v4 dst_sel:DWORD dst_unused:UNUSED_PAD src0_sel:WORD_0 src1_sel:DWORD
	s_waitcnt vmcnt(0)
	v_cvt_f32_i32_e32 v12, v12
	v_sub_u32_sdwa v9, v9, v4 dst_sel:DWORD dst_unused:UNUSED_PAD src0_sel:WORD_0 src1_sel:DWORD
	v_sub_u32_sdwa v6, v6, v4 dst_sel:DWORD dst_unused:UNUSED_PAD src0_sel:WORD_0 src1_sel:DWORD
	v_sub_u32_sdwa v4, v7, v4 dst_sel:DWORD dst_unused:UNUSED_PAD src0_sel:WORD_0 src1_sel:DWORD
	v_cvt_f32_i32_e32 v5, v5
	v_cvt_f32_i32_e32 v7, v9
	;; [unrolled: 1-line block ×4, first 2 shown]
	v_mul_f32_e32 v3, v2, v3
	v_mul_f32_e32 v8, v2, v8
	;; [unrolled: 1-line block ×4, first 2 shown]
	v_fma_mixlo_f16 v3, v3, v5, 0
	v_fma_mixlo_f16 v5, v8, v7, 0
	;; [unrolled: 1-line block ×4, first 2 shown]
	global_store_short v[0:1], v3, off
	global_store_short v[0:1], v5, off offset:64
	global_store_short v[0:1], v6, off offset:128
	;; [unrolled: 1-line block ×3, first 2 shown]
	s_endpgm
	.section	.rodata,"a",@progbits
	.p2align	6, 0x0
	.amdhsa_kernel _ZL21dequantize_block_q6_KI6__halfEvPKvPT_
		.amdhsa_group_segment_fixed_size 0
		.amdhsa_private_segment_fixed_size 0
		.amdhsa_kernarg_size 16
		.amdhsa_user_sgpr_count 6
		.amdhsa_user_sgpr_private_segment_buffer 1
		.amdhsa_user_sgpr_dispatch_ptr 0
		.amdhsa_user_sgpr_queue_ptr 0
		.amdhsa_user_sgpr_kernarg_segment_ptr 1
		.amdhsa_user_sgpr_dispatch_id 0
		.amdhsa_user_sgpr_flat_scratch_init 0
		.amdhsa_user_sgpr_kernarg_preload_length 0
		.amdhsa_user_sgpr_kernarg_preload_offset 0
		.amdhsa_user_sgpr_private_segment_size 0
		.amdhsa_uses_dynamic_stack 0
		.amdhsa_system_sgpr_private_segment_wavefront_offset 0
		.amdhsa_system_sgpr_workgroup_id_x 1
		.amdhsa_system_sgpr_workgroup_id_y 0
		.amdhsa_system_sgpr_workgroup_id_z 0
		.amdhsa_system_sgpr_workgroup_info 0
		.amdhsa_system_vgpr_workitem_id 0
		.amdhsa_next_free_vgpr 16
		.amdhsa_next_free_sgpr 8
		.amdhsa_accum_offset 16
		.amdhsa_reserve_vcc 1
		.amdhsa_reserve_flat_scratch 0
		.amdhsa_float_round_mode_32 0
		.amdhsa_float_round_mode_16_64 0
		.amdhsa_float_denorm_mode_32 3
		.amdhsa_float_denorm_mode_16_64 3
		.amdhsa_dx10_clamp 1
		.amdhsa_ieee_mode 1
		.amdhsa_fp16_overflow 0
		.amdhsa_tg_split 0
		.amdhsa_exception_fp_ieee_invalid_op 0
		.amdhsa_exception_fp_denorm_src 0
		.amdhsa_exception_fp_ieee_div_zero 0
		.amdhsa_exception_fp_ieee_overflow 0
		.amdhsa_exception_fp_ieee_underflow 0
		.amdhsa_exception_fp_ieee_inexact 0
		.amdhsa_exception_int_div_zero 0
	.end_amdhsa_kernel
	.section	.text._ZL21dequantize_block_q6_KI6__halfEvPKvPT_,"axG",@progbits,_ZL21dequantize_block_q6_KI6__halfEvPKvPT_,comdat
.Lfunc_end8:
	.size	_ZL21dequantize_block_q6_KI6__halfEvPKvPT_, .Lfunc_end8-_ZL21dequantize_block_q6_KI6__halfEvPKvPT_
                                        ; -- End function
	.section	.AMDGPU.csdata,"",@progbits
; Kernel info:
; codeLenInByte = 444
; NumSgprs: 12
; NumVgprs: 16
; NumAgprs: 0
; TotalNumVgprs: 16
; ScratchSize: 0
; MemoryBound: 0
; FloatMode: 240
; IeeeMode: 1
; LDSByteSize: 0 bytes/workgroup (compile time only)
; SGPRBlocks: 1
; VGPRBlocks: 1
; NumSGPRsForWavesPerEU: 12
; NumVGPRsForWavesPerEU: 16
; AccumOffset: 16
; Occupancy: 8
; WaveLimiterHint : 0
; COMPUTE_PGM_RSRC2:SCRATCH_EN: 0
; COMPUTE_PGM_RSRC2:USER_SGPR: 6
; COMPUTE_PGM_RSRC2:TRAP_HANDLER: 0
; COMPUTE_PGM_RSRC2:TGID_X_EN: 1
; COMPUTE_PGM_RSRC2:TGID_Y_EN: 0
; COMPUTE_PGM_RSRC2:TGID_Z_EN: 0
; COMPUTE_PGM_RSRC2:TIDIG_COMP_CNT: 0
; COMPUTE_PGM_RSRC3_GFX90A:ACCUM_OFFSET: 3
; COMPUTE_PGM_RSRC3_GFX90A:TG_SPLIT: 0
	.section	.text._ZL24dequantize_block_iq2_xxsI6__halfEvPKvPT_,"axG",@progbits,_ZL24dequantize_block_iq2_xxsI6__halfEvPKvPT_,comdat
	.globl	_ZL24dequantize_block_iq2_xxsI6__halfEvPKvPT_ ; -- Begin function _ZL24dequantize_block_iq2_xxsI6__halfEvPKvPT_
	.p2align	8
	.type	_ZL24dequantize_block_iq2_xxsI6__halfEvPKvPT_,@function
_ZL24dequantize_block_iq2_xxsI6__halfEvPKvPT_: ; @_ZL24dequantize_block_iq2_xxsI6__halfEvPKvPT_
; %bb.0:
	s_load_dwordx4 s[0:3], s[4:5], 0x0
	s_mov_b32 s7, 0
	s_lshl_b64 s[4:5], s[6:7], 9
	v_and_b32_e32 v4, 7, v0
	v_lshlrev_b32_e32 v5, 3, v4
	s_waitcnt lgkmcnt(0)
	s_add_u32 s4, s2, s4
	s_addc_u32 s5, s3, s5
	s_mul_i32 s3, s6, 0x42
	s_mul_hi_u32 s2, s6, 0x42
	s_add_u32 s0, s0, s3
	s_addc_u32 s1, s1, s2
	v_mov_b32_e32 v2, s1
	v_add_co_u32_e32 v3, vcc, s0, v5
	v_lshrrev_b32_e32 v1, 3, v0
	v_addc_co_u32_e32 v6, vcc, 0, v2, vcc
	v_add_co_u32_e32 v2, vcc, v3, v1
	v_addc_co_u32_e32 v3, vcc, 0, v6, vcc
	global_load_ubyte v6, v[2:3], off offset:2
	global_load_dword v7, v5, s[0:1] offset:6
	v_mov_b32_e32 v2, 0
	global_load_ushort v8, v2, s[0:1]
	s_getpc_b64 s[0:1]
	s_add_u32 s0, s0, _ZL11iq2xxs_grid@rel32@lo+4
	s_addc_u32 s1, s1, _ZL11iq2xxs_grid@rel32@hi+12
	v_mul_u32_u24_e32 v1, 7, v1
	s_getpc_b64 s[2:3]
	s_add_u32 s2, s2, _ZL12ksigns_iq2xs@rel32@lo+4
	s_addc_u32 s3, s3, _ZL12ksigns_iq2xs@rel32@hi+12
	v_lshlrev_b32_e32 v4, 6, v4
	v_and_b32_e32 v0, 0x3f8, v0
	v_add_co_u32_e32 v4, vcc, s4, v4
	v_lshlrev_b32_e32 v0, 1, v0
	s_waitcnt vmcnt(2)
	v_lshlrev_b32_e32 v5, 3, v6
	s_waitcnt vmcnt(1)
	v_bfe_u32 v1, v7, v1, 7
	global_load_dwordx2 v[2:3], v5, s[0:1]
	global_load_sbyte v6, v1, s[2:3]
	v_mov_b32_e32 v5, s5
	v_addc_co_u32_e32 v5, vcc, 0, v5, vcc
	v_add_co_u32_e32 v4, vcc, v4, v0
	s_waitcnt vmcnt(2)
	v_cvt_f32_f16_e32 v0, v8
	v_lshrrev_b32_e32 v7, 28, v7
	v_cvt_f32_ubyte0_e32 v7, v7
	v_add_f32_e32 v7, 0.5, v7
	v_mul_f32_e32 v0, v7, v0
	v_addc_co_u32_e32 v5, vcc, 0, v5, vcc
	v_mul_f32_e32 v0, 0x3e800000, v0
	s_waitcnt vmcnt(1)
	v_cvt_f32_ubyte0_e32 v7, v2
	s_waitcnt vmcnt(0)
	v_and_b32_e32 v8, 1, v6
	v_cvt_f32_ubyte1_e32 v9, v2
	v_and_b32_e32 v10, 2, v6
	v_cvt_f32_ubyte2_e32 v11, v2
	v_cvt_f32_ubyte3_e32 v2, v2
	v_cvt_f32_ubyte0_e32 v14, v3
	v_cvt_f32_ubyte1_e32 v16, v3
	v_cvt_f32_ubyte2_e32 v18, v3
	v_cvt_f32_ubyte3_e32 v3, v3
	v_mul_f32_e32 v7, v0, v7
	v_cmp_eq_u16_e32 vcc, 0, v8
	v_and_b32_e32 v12, 4, v6
	v_mul_f32_e32 v9, v0, v9
	v_mul_f32_e32 v11, v0, v11
	;; [unrolled: 1-line block ×7, first 2 shown]
	v_cndmask_b32_e64 v3, -v7, v7, vcc
	v_cmp_eq_u16_e32 vcc, 0, v10
	v_and_b32_e32 v13, 8, v6
	v_cndmask_b32_e64 v7, -v9, v9, vcc
	v_cmp_eq_u16_e32 vcc, 0, v12
	v_and_b32_e32 v15, 16, v6
	v_cndmask_b32_e64 v8, -v11, v11, vcc
	v_cmp_eq_u16_e32 vcc, 0, v13
	v_and_b32_e32 v17, 32, v6
	v_cndmask_b32_e64 v2, -v2, v2, vcc
	v_cmp_eq_u16_e32 vcc, 0, v15
	v_cndmask_b32_e64 v9, -v14, v14, vcc
	v_cmp_eq_u16_e32 vcc, 0, v17
	v_cndmask_b32_e64 v10, -v16, v16, vcc
	v_cmp_gt_u32_e32 vcc, 64, v1
	v_cndmask_b32_e64 v1, -v18, v18, vcc
	v_cmp_gt_i16_e32 vcc, 0, v6
	v_cndmask_b32_e64 v0, v0, -v0, vcc
	v_cvt_f16_f32_e32 v6, v3
	v_cvt_f16_f32_e32 v8, v8
	;; [unrolled: 1-line block ×8, first 2 shown]
	v_pack_b32_f16 v3, v1, v0
	v_pack_b32_f16 v2, v9, v10
	;; [unrolled: 1-line block ×4, first 2 shown]
	global_store_dwordx4 v[4:5], v[0:3], off
	s_endpgm
	.section	.rodata,"a",@progbits
	.p2align	6, 0x0
	.amdhsa_kernel _ZL24dequantize_block_iq2_xxsI6__halfEvPKvPT_
		.amdhsa_group_segment_fixed_size 0
		.amdhsa_private_segment_fixed_size 0
		.amdhsa_kernarg_size 16
		.amdhsa_user_sgpr_count 6
		.amdhsa_user_sgpr_private_segment_buffer 1
		.amdhsa_user_sgpr_dispatch_ptr 0
		.amdhsa_user_sgpr_queue_ptr 0
		.amdhsa_user_sgpr_kernarg_segment_ptr 1
		.amdhsa_user_sgpr_dispatch_id 0
		.amdhsa_user_sgpr_flat_scratch_init 0
		.amdhsa_user_sgpr_kernarg_preload_length 0
		.amdhsa_user_sgpr_kernarg_preload_offset 0
		.amdhsa_user_sgpr_private_segment_size 0
		.amdhsa_uses_dynamic_stack 0
		.amdhsa_system_sgpr_private_segment_wavefront_offset 0
		.amdhsa_system_sgpr_workgroup_id_x 1
		.amdhsa_system_sgpr_workgroup_id_y 0
		.amdhsa_system_sgpr_workgroup_id_z 0
		.amdhsa_system_sgpr_workgroup_info 0
		.amdhsa_system_vgpr_workitem_id 0
		.amdhsa_next_free_vgpr 19
		.amdhsa_next_free_sgpr 8
		.amdhsa_accum_offset 20
		.amdhsa_reserve_vcc 1
		.amdhsa_reserve_flat_scratch 0
		.amdhsa_float_round_mode_32 0
		.amdhsa_float_round_mode_16_64 0
		.amdhsa_float_denorm_mode_32 3
		.amdhsa_float_denorm_mode_16_64 3
		.amdhsa_dx10_clamp 1
		.amdhsa_ieee_mode 1
		.amdhsa_fp16_overflow 0
		.amdhsa_tg_split 0
		.amdhsa_exception_fp_ieee_invalid_op 0
		.amdhsa_exception_fp_denorm_src 0
		.amdhsa_exception_fp_ieee_div_zero 0
		.amdhsa_exception_fp_ieee_overflow 0
		.amdhsa_exception_fp_ieee_underflow 0
		.amdhsa_exception_fp_ieee_inexact 0
		.amdhsa_exception_int_div_zero 0
	.end_amdhsa_kernel
	.section	.text._ZL24dequantize_block_iq2_xxsI6__halfEvPKvPT_,"axG",@progbits,_ZL24dequantize_block_iq2_xxsI6__halfEvPKvPT_,comdat
.Lfunc_end9:
	.size	_ZL24dequantize_block_iq2_xxsI6__halfEvPKvPT_, .Lfunc_end9-_ZL24dequantize_block_iq2_xxsI6__halfEvPKvPT_
                                        ; -- End function
	.section	.AMDGPU.csdata,"",@progbits
; Kernel info:
; codeLenInByte = 528
; NumSgprs: 12
; NumVgprs: 19
; NumAgprs: 0
; TotalNumVgprs: 19
; ScratchSize: 0
; MemoryBound: 0
; FloatMode: 240
; IeeeMode: 1
; LDSByteSize: 0 bytes/workgroup (compile time only)
; SGPRBlocks: 1
; VGPRBlocks: 2
; NumSGPRsForWavesPerEU: 12
; NumVGPRsForWavesPerEU: 19
; AccumOffset: 20
; Occupancy: 8
; WaveLimiterHint : 0
; COMPUTE_PGM_RSRC2:SCRATCH_EN: 0
; COMPUTE_PGM_RSRC2:USER_SGPR: 6
; COMPUTE_PGM_RSRC2:TRAP_HANDLER: 0
; COMPUTE_PGM_RSRC2:TGID_X_EN: 1
; COMPUTE_PGM_RSRC2:TGID_Y_EN: 0
; COMPUTE_PGM_RSRC2:TGID_Z_EN: 0
; COMPUTE_PGM_RSRC2:TIDIG_COMP_CNT: 0
; COMPUTE_PGM_RSRC3_GFX90A:ACCUM_OFFSET: 4
; COMPUTE_PGM_RSRC3_GFX90A:TG_SPLIT: 0
	.section	.text._ZL23dequantize_block_iq2_xsI6__halfEvPKvPT_,"axG",@progbits,_ZL23dequantize_block_iq2_xsI6__halfEvPKvPT_,comdat
	.globl	_ZL23dequantize_block_iq2_xsI6__halfEvPKvPT_ ; -- Begin function _ZL23dequantize_block_iq2_xsI6__halfEvPKvPT_
	.p2align	8
	.type	_ZL23dequantize_block_iq2_xsI6__halfEvPKvPT_,@function
_ZL23dequantize_block_iq2_xsI6__halfEvPKvPT_: ; @_ZL23dequantize_block_iq2_xsI6__halfEvPKvPT_
; %bb.0:
	s_load_dwordx4 s[0:3], s[4:5], 0x0
	s_mov_b32 s7, 0
	s_lshl_b64 s[4:5], s[6:7], 9
	v_and_b32_e32 v1, 7, v0
	v_lshlrev_b32_e32 v2, 3, v1
	s_waitcnt lgkmcnt(0)
	s_add_u32 s7, s2, s4
	s_addc_u32 s8, s3, s5
	s_mul_i32 s3, s6, 0x4a
	s_mul_hi_u32 s2, s6, 0x4a
	s_add_u32 s0, s0, s3
	s_addc_u32 s1, s1, s2
	v_mov_b32_e32 v3, s1
	v_add_co_u32_e32 v2, vcc, s0, v2
	v_lshrrev_b32_e32 v6, 2, v0
	v_addc_co_u32_e32 v3, vcc, 0, v3, vcc
	v_and_b32_e32 v4, 0xfe, v6
	v_add_co_u32_e32 v2, vcc, v2, v4
	v_addc_co_u32_e32 v3, vcc, 0, v3, vcc
	global_load_ushort v8, v[2:3], off offset:2
	v_mov_b32_e32 v2, 0
	global_load_ushort v9, v2, s[0:1]
	global_load_ubyte v10, v1, s[0:1] offset:66
	s_getpc_b64 s[2:3]
	s_add_u32 s2, s2, _ZL10iq2xs_grid@rel32@lo+4
	s_addc_u32 s3, s3, _ZL10iq2xs_grid@rel32@hi+12
	v_mov_b32_e32 v3, 3
	s_getpc_b64 s[4:5]
	s_add_u32 s4, s4, _ZL12ksigns_iq2xs@rel32@lo+4
	s_addc_u32 s5, s5, _ZL12ksigns_iq2xs@rel32@hi+12
	v_mov_b32_e32 v4, s5
	v_lshlrev_b32_e32 v1, 6, v1
	v_and_b32_e32 v0, 0x3f8, v0
	v_lshlrev_b32_e32 v0, 1, v0
	s_waitcnt vmcnt(2)
	v_and_b32_e32 v2, 0x1ff, v8
	v_lshrrev_b16_e32 v5, 9, v8
	v_lshlrev_b32_sdwa v7, v3, v2 dst_sel:DWORD dst_unused:UNUSED_PAD src0_sel:DWORD src1_sel:WORD_0
	v_add_co_u32_e32 v2, vcc, s4, v5
	v_addc_co_u32_e32 v3, vcc, 0, v4, vcc
	global_load_dwordx2 v[4:5], v7, s[2:3]
	global_load_sbyte v11, v[2:3], off
	v_mov_b32_e32 v3, s8
	v_add_co_u32_e32 v1, vcc, s7, v1
	v_addc_co_u32_e32 v3, vcc, 0, v3, vcc
	v_and_b32_e32 v2, 0xfc, v6
	v_add_co_u32_e32 v6, vcc, v1, v0
	s_waitcnt vmcnt(3)
	v_cvt_f32_f16_e32 v0, v9
	s_waitcnt vmcnt(2)
	v_bfe_u32 v1, v10, v2, 4
	v_cvt_f32_ubyte0_e32 v1, v1
	v_add_f32_e32 v1, 0.5, v1
	v_mul_f32_e32 v0, v1, v0
	v_addc_co_u32_e32 v7, vcc, 0, v3, vcc
	v_mul_f32_e32 v0, 0x3e800000, v0
	s_waitcnt vmcnt(1)
	v_cvt_f32_ubyte0_e32 v1, v4
	s_waitcnt vmcnt(0)
	v_and_b32_e32 v2, 1, v11
	v_cvt_f32_ubyte1_e32 v3, v4
	v_and_b32_e32 v9, 2, v11
	v_mul_f32_e32 v1, v0, v1
	v_cmp_eq_u16_e32 vcc, 0, v2
	v_cvt_f32_ubyte2_e32 v10, v4
	v_and_b32_e32 v12, 4, v11
	v_mul_f32_e32 v3, v0, v3
	v_cndmask_b32_e64 v1, -v1, v1, vcc
	v_cmp_eq_u16_e32 vcc, 0, v9
	v_cvt_f32_ubyte3_e32 v4, v4
	v_and_b32_e32 v13, 8, v11
	v_mul_f32_e32 v10, v0, v10
	v_cndmask_b32_e64 v2, -v3, v3, vcc
	v_cmp_eq_u16_e32 vcc, 0, v12
	v_cvt_f32_ubyte0_e32 v14, v5
	v_and_b32_e32 v15, 16, v11
	v_mul_f32_e32 v4, v0, v4
	v_cndmask_b32_e64 v3, -v10, v10, vcc
	v_cmp_eq_u16_e32 vcc, 0, v13
	v_cvt_f32_ubyte1_e32 v16, v5
	v_and_b32_e32 v17, 32, v11
	v_cvt_f32_ubyte2_e32 v18, v5
	v_cvt_f32_ubyte3_e32 v5, v5
	v_mul_f32_e32 v14, v0, v14
	v_cndmask_b32_e64 v4, -v4, v4, vcc
	v_cmp_eq_u16_e32 vcc, 0, v15
	v_mul_f32_e32 v16, v0, v16
	v_mul_f32_e32 v18, v0, v18
	v_mul_f32_e32 v0, v0, v5
	v_cndmask_b32_e64 v5, -v14, v14, vcc
	v_cmp_eq_u16_e32 vcc, 0, v17
	v_cndmask_b32_e64 v9, -v16, v16, vcc
	v_cmp_gt_i16_e32 vcc, 0, v8
	v_cndmask_b32_e64 v8, v18, -v18, vcc
	v_cmp_gt_i16_e32 vcc, 0, v11
	v_cndmask_b32_e64 v0, v0, -v0, vcc
	v_cvt_f16_f32_e32 v10, v1
	v_cvt_f16_f32_e32 v1, v3
	;; [unrolled: 1-line block ×8, first 2 shown]
	v_pack_b32_f16 v3, v3, v0
	v_pack_b32_f16 v2, v5, v8
	;; [unrolled: 1-line block ×4, first 2 shown]
	global_store_dwordx4 v[6:7], v[0:3], off
	s_endpgm
	.section	.rodata,"a",@progbits
	.p2align	6, 0x0
	.amdhsa_kernel _ZL23dequantize_block_iq2_xsI6__halfEvPKvPT_
		.amdhsa_group_segment_fixed_size 0
		.amdhsa_private_segment_fixed_size 0
		.amdhsa_kernarg_size 16
		.amdhsa_user_sgpr_count 6
		.amdhsa_user_sgpr_private_segment_buffer 1
		.amdhsa_user_sgpr_dispatch_ptr 0
		.amdhsa_user_sgpr_queue_ptr 0
		.amdhsa_user_sgpr_kernarg_segment_ptr 1
		.amdhsa_user_sgpr_dispatch_id 0
		.amdhsa_user_sgpr_flat_scratch_init 0
		.amdhsa_user_sgpr_kernarg_preload_length 0
		.amdhsa_user_sgpr_kernarg_preload_offset 0
		.amdhsa_user_sgpr_private_segment_size 0
		.amdhsa_uses_dynamic_stack 0
		.amdhsa_system_sgpr_private_segment_wavefront_offset 0
		.amdhsa_system_sgpr_workgroup_id_x 1
		.amdhsa_system_sgpr_workgroup_id_y 0
		.amdhsa_system_sgpr_workgroup_id_z 0
		.amdhsa_system_sgpr_workgroup_info 0
		.amdhsa_system_vgpr_workitem_id 0
		.amdhsa_next_free_vgpr 19
		.amdhsa_next_free_sgpr 9
		.amdhsa_accum_offset 20
		.amdhsa_reserve_vcc 1
		.amdhsa_reserve_flat_scratch 0
		.amdhsa_float_round_mode_32 0
		.amdhsa_float_round_mode_16_64 0
		.amdhsa_float_denorm_mode_32 3
		.amdhsa_float_denorm_mode_16_64 3
		.amdhsa_dx10_clamp 1
		.amdhsa_ieee_mode 1
		.amdhsa_fp16_overflow 0
		.amdhsa_tg_split 0
		.amdhsa_exception_fp_ieee_invalid_op 0
		.amdhsa_exception_fp_denorm_src 0
		.amdhsa_exception_fp_ieee_div_zero 0
		.amdhsa_exception_fp_ieee_overflow 0
		.amdhsa_exception_fp_ieee_underflow 0
		.amdhsa_exception_fp_ieee_inexact 0
		.amdhsa_exception_int_div_zero 0
	.end_amdhsa_kernel
	.section	.text._ZL23dequantize_block_iq2_xsI6__halfEvPKvPT_,"axG",@progbits,_ZL23dequantize_block_iq2_xsI6__halfEvPKvPT_,comdat
.Lfunc_end10:
	.size	_ZL23dequantize_block_iq2_xsI6__halfEvPKvPT_, .Lfunc_end10-_ZL23dequantize_block_iq2_xsI6__halfEvPKvPT_
                                        ; -- End function
	.section	.AMDGPU.csdata,"",@progbits
; Kernel info:
; codeLenInByte = 568
; NumSgprs: 13
; NumVgprs: 19
; NumAgprs: 0
; TotalNumVgprs: 19
; ScratchSize: 0
; MemoryBound: 0
; FloatMode: 240
; IeeeMode: 1
; LDSByteSize: 0 bytes/workgroup (compile time only)
; SGPRBlocks: 1
; VGPRBlocks: 2
; NumSGPRsForWavesPerEU: 13
; NumVGPRsForWavesPerEU: 19
; AccumOffset: 20
; Occupancy: 8
; WaveLimiterHint : 0
; COMPUTE_PGM_RSRC2:SCRATCH_EN: 0
; COMPUTE_PGM_RSRC2:USER_SGPR: 6
; COMPUTE_PGM_RSRC2:TRAP_HANDLER: 0
; COMPUTE_PGM_RSRC2:TGID_X_EN: 1
; COMPUTE_PGM_RSRC2:TGID_Y_EN: 0
; COMPUTE_PGM_RSRC2:TGID_Z_EN: 0
; COMPUTE_PGM_RSRC2:TIDIG_COMP_CNT: 0
; COMPUTE_PGM_RSRC3_GFX90A:ACCUM_OFFSET: 4
; COMPUTE_PGM_RSRC3_GFX90A:TG_SPLIT: 0
	.section	.text._ZL22dequantize_block_iq2_sI6__halfEvPKvPT_,"axG",@progbits,_ZL22dequantize_block_iq2_sI6__halfEvPKvPT_,comdat
	.globl	_ZL22dequantize_block_iq2_sI6__halfEvPKvPT_ ; -- Begin function _ZL22dequantize_block_iq2_sI6__halfEvPKvPT_
	.p2align	8
	.type	_ZL22dequantize_block_iq2_sI6__halfEvPKvPT_,@function
_ZL22dequantize_block_iq2_sI6__halfEvPKvPT_: ; @_ZL22dequantize_block_iq2_sI6__halfEvPKvPT_
; %bb.0:
	s_load_dwordx4 s[0:3], s[4:5], 0x0
	s_mov_b32 s7, 0
	s_lshl_b64 s[4:5], s[6:7], 9
	v_and_b32_e32 v4, 7, v0
	v_lshrrev_b32_e32 v1, 3, v0
	s_waitcnt lgkmcnt(0)
	s_add_u32 s4, s2, s4
	s_addc_u32 s5, s3, s5
	s_mul_i32 s3, s6, 0x52
	s_mul_hi_u32 s2, s6, 0x52
	s_add_u32 s0, s0, s3
	v_lshlrev_b32_e32 v2, 2, v4
	s_addc_u32 s1, s1, s2
	v_add_co_u32_e32 v5, vcc, v2, v1
	v_addc_co_u32_e64 v6, s[2:3], 0, 0, vcc
	v_mov_b32_e32 v3, s1
	v_add_co_u32_e32 v2, vcc, s0, v5
	v_addc_co_u32_e32 v3, vcc, v3, v6, vcc
	global_load_ubyte v7, v4, s[0:1] offset:66
	global_load_ubyte v8, v[2:3], off offset:2
	s_add_u32 s2, s0, 2
	s_addc_u32 s3, s1, 0
	v_mov_b32_e32 v3, s3
	v_add_co_u32_e32 v2, vcc, s2, v5
	v_addc_co_u32_e32 v3, vcc, v3, v6, vcc
	v_lshlrev_b32_e32 v1, 1, v1
	v_mov_b32_e32 v9, 0
	global_load_sbyte v6, v[2:3], off offset:32
	global_load_ushort v10, v9, s[0:1]
	global_load_ubyte v11, v4, s[0:1] offset:74
	v_sub_u32_e32 v1, 8, v1
	s_movk_i32 s2, 0x300
	s_getpc_b64 s[0:1]
	s_add_u32 s0, s0, _ZL9iq2s_grid@rel32@lo+4
	s_addc_u32 s1, s1, _ZL9iq2s_grid@rel32@hi+12
	v_lshlrev_b32_e32 v4, 6, v4
	v_mov_b32_e32 v5, s5
	v_add_co_u32_e32 v4, vcc, s4, v4
	v_addc_co_u32_e32 v5, vcc, 0, v5, vcc
	s_waitcnt vmcnt(4)
	v_lshlrev_b32_e32 v1, v1, v7
	s_waitcnt vmcnt(3)
	v_and_or_b32 v1, v1, s2, v8
	v_lshlrev_b32_e32 v1, 3, v1
	global_load_dwordx2 v[2:3], v1, s[0:1]
	v_and_b32_e32 v1, 0x3f8, v0
	v_lshrrev_b32_e32 v0, 2, v0
	v_lshlrev_b32_e32 v1, 1, v1
	v_and_b32_e32 v0, 0xfc, v0
	v_add_co_u32_e32 v4, vcc, v4, v1
	s_waitcnt vmcnt(2)
	v_cvt_f32_f16_e32 v1, v10
	s_waitcnt vmcnt(1)
	v_bfe_u32 v0, v11, v0, 4
	v_cvt_f32_ubyte0_e32 v0, v0
	v_add_f32_e32 v0, 0.5, v0
	v_mul_f32_e32 v0, v0, v1
	v_addc_co_u32_e32 v5, vcc, 0, v5, vcc
	v_and_b32_e32 v7, 1, v6
	v_mul_f32_e32 v0, 0x3e800000, v0
	v_and_b32_e32 v8, 2, v6
	v_cmp_eq_u16_e32 vcc, 0, v7
	v_and_b32_e32 v9, 4, v6
	v_and_b32_e32 v10, 8, v6
	;; [unrolled: 1-line block ×5, first 2 shown]
	s_waitcnt vmcnt(0)
	v_cvt_f32_ubyte0_e32 v1, v2
	v_cvt_f32_ubyte1_e32 v14, v2
	v_mul_f32_e32 v1, v0, v1
	v_cvt_f32_ubyte2_e32 v15, v2
	v_cvt_f32_ubyte3_e32 v2, v2
	v_cvt_f32_ubyte0_e32 v16, v3
	v_cvt_f32_ubyte1_e32 v17, v3
	v_cvt_f32_ubyte2_e32 v18, v3
	v_cvt_f32_ubyte3_e32 v3, v3
	v_mul_f32_e32 v14, v0, v14
	v_cndmask_b32_e64 v1, -v1, v1, vcc
	v_cmp_eq_u16_e32 vcc, 0, v8
	v_mul_f32_e32 v15, v0, v15
	v_mul_f32_e32 v2, v0, v2
	;; [unrolled: 1-line block ×6, first 2 shown]
	v_cndmask_b32_e64 v3, -v14, v14, vcc
	v_cmp_eq_u16_e32 vcc, 0, v9
	v_cndmask_b32_e64 v7, -v15, v15, vcc
	v_cmp_eq_u16_e32 vcc, 0, v10
	;; [unrolled: 2-line block ×5, first 2 shown]
	v_cndmask_b32_e64 v10, -v18, v18, vcc
	v_cmp_gt_i16_e32 vcc, 0, v6
	v_cndmask_b32_e64 v0, v0, -v0, vcc
	v_cvt_f16_f32_e32 v6, v1
	v_cvt_f16_f32_e32 v1, v7
	;; [unrolled: 1-line block ×8, first 2 shown]
	v_pack_b32_f16 v3, v8, v0
	v_pack_b32_f16 v2, v7, v9
	v_pack_b32_f16 v1, v1, v10
	v_pack_b32_f16 v0, v6, v11
	global_store_dwordx4 v[4:5], v[0:3], off
	s_endpgm
	.section	.rodata,"a",@progbits
	.p2align	6, 0x0
	.amdhsa_kernel _ZL22dequantize_block_iq2_sI6__halfEvPKvPT_
		.amdhsa_group_segment_fixed_size 0
		.amdhsa_private_segment_fixed_size 0
		.amdhsa_kernarg_size 16
		.amdhsa_user_sgpr_count 6
		.amdhsa_user_sgpr_private_segment_buffer 1
		.amdhsa_user_sgpr_dispatch_ptr 0
		.amdhsa_user_sgpr_queue_ptr 0
		.amdhsa_user_sgpr_kernarg_segment_ptr 1
		.amdhsa_user_sgpr_dispatch_id 0
		.amdhsa_user_sgpr_flat_scratch_init 0
		.amdhsa_user_sgpr_kernarg_preload_length 0
		.amdhsa_user_sgpr_kernarg_preload_offset 0
		.amdhsa_user_sgpr_private_segment_size 0
		.amdhsa_uses_dynamic_stack 0
		.amdhsa_system_sgpr_private_segment_wavefront_offset 0
		.amdhsa_system_sgpr_workgroup_id_x 1
		.amdhsa_system_sgpr_workgroup_id_y 0
		.amdhsa_system_sgpr_workgroup_id_z 0
		.amdhsa_system_sgpr_workgroup_info 0
		.amdhsa_system_vgpr_workitem_id 0
		.amdhsa_next_free_vgpr 19
		.amdhsa_next_free_sgpr 8
		.amdhsa_accum_offset 20
		.amdhsa_reserve_vcc 1
		.amdhsa_reserve_flat_scratch 0
		.amdhsa_float_round_mode_32 0
		.amdhsa_float_round_mode_16_64 0
		.amdhsa_float_denorm_mode_32 3
		.amdhsa_float_denorm_mode_16_64 3
		.amdhsa_dx10_clamp 1
		.amdhsa_ieee_mode 1
		.amdhsa_fp16_overflow 0
		.amdhsa_tg_split 0
		.amdhsa_exception_fp_ieee_invalid_op 0
		.amdhsa_exception_fp_denorm_src 0
		.amdhsa_exception_fp_ieee_div_zero 0
		.amdhsa_exception_fp_ieee_overflow 0
		.amdhsa_exception_fp_ieee_underflow 0
		.amdhsa_exception_fp_ieee_inexact 0
		.amdhsa_exception_int_div_zero 0
	.end_amdhsa_kernel
	.section	.text._ZL22dequantize_block_iq2_sI6__halfEvPKvPT_,"axG",@progbits,_ZL22dequantize_block_iq2_sI6__halfEvPKvPT_,comdat
.Lfunc_end11:
	.size	_ZL22dequantize_block_iq2_sI6__halfEvPKvPT_, .Lfunc_end11-_ZL22dequantize_block_iq2_sI6__halfEvPKvPT_
                                        ; -- End function
	.section	.AMDGPU.csdata,"",@progbits
; Kernel info:
; codeLenInByte = 572
; NumSgprs: 12
; NumVgprs: 19
; NumAgprs: 0
; TotalNumVgprs: 19
; ScratchSize: 0
; MemoryBound: 0
; FloatMode: 240
; IeeeMode: 1
; LDSByteSize: 0 bytes/workgroup (compile time only)
; SGPRBlocks: 1
; VGPRBlocks: 2
; NumSGPRsForWavesPerEU: 12
; NumVGPRsForWavesPerEU: 19
; AccumOffset: 20
; Occupancy: 8
; WaveLimiterHint : 0
; COMPUTE_PGM_RSRC2:SCRATCH_EN: 0
; COMPUTE_PGM_RSRC2:USER_SGPR: 6
; COMPUTE_PGM_RSRC2:TRAP_HANDLER: 0
; COMPUTE_PGM_RSRC2:TGID_X_EN: 1
; COMPUTE_PGM_RSRC2:TGID_Y_EN: 0
; COMPUTE_PGM_RSRC2:TGID_Z_EN: 0
; COMPUTE_PGM_RSRC2:TIDIG_COMP_CNT: 0
; COMPUTE_PGM_RSRC3_GFX90A:ACCUM_OFFSET: 4
; COMPUTE_PGM_RSRC3_GFX90A:TG_SPLIT: 0
	.section	.text._ZL24dequantize_block_iq3_xxsI6__halfEvPKvPT_,"axG",@progbits,_ZL24dequantize_block_iq3_xxsI6__halfEvPKvPT_,comdat
	.globl	_ZL24dequantize_block_iq3_xxsI6__halfEvPKvPT_ ; -- Begin function _ZL24dequantize_block_iq3_xxsI6__halfEvPKvPT_
	.p2align	8
	.type	_ZL24dequantize_block_iq3_xxsI6__halfEvPKvPT_,@function
_ZL24dequantize_block_iq3_xxsI6__halfEvPKvPT_: ; @_ZL24dequantize_block_iq3_xxsI6__halfEvPKvPT_
; %bb.0:
	s_load_dwordx4 s[0:3], s[4:5], 0x0
	s_mov_b32 s7, 0
	s_lshl_b64 s[4:5], s[6:7], 9
	v_and_b32_e32 v4, 7, v0
	v_lshlrev_b32_e32 v2, 3, v4
	s_waitcnt lgkmcnt(0)
	s_add_u32 s4, s2, s4
	s_addc_u32 s5, s3, s5
	s_mul_i32 s3, s6, 0x62
	s_mul_hi_u32 s2, s6, 0x62
	s_add_u32 s0, s0, s3
	s_addc_u32 s1, s1, s2
	v_lshrrev_b32_e32 v1, 3, v0
	v_mov_b32_e32 v3, s1
	v_add_co_u32_e32 v5, vcc, s0, v2
	v_addc_co_u32_e32 v6, vcc, 0, v3, vcc
	v_lshlrev_b32_e32 v2, 1, v1
	v_add_co_u32_e32 v2, vcc, v5, v2
	v_lshlrev_b32_e32 v7, 2, v4
	v_addc_co_u32_e32 v3, vcc, 0, v6, vcc
	global_load_ushort v8, v[2:3], off offset:2
	v_sub_co_u32_e32 v2, vcc, v5, v7
	v_subbrev_co_u32_e32 v3, vcc, 0, v6, vcc
	global_load_dword v2, v[2:3], off offset:66
	v_mov_b32_e32 v3, 0
	global_load_ushort v3, v3, s[0:1]
	v_mov_b32_e32 v5, 2
	s_getpc_b64 s[0:1]
	s_add_u32 s0, s0, _ZL11iq3xxs_grid@rel32@lo+4
	s_addc_u32 s1, s1, _ZL11iq3xxs_grid@rel32@hi+12
	v_mul_u32_u24_e32 v1, 7, v1
	s_getpc_b64 s[2:3]
	s_add_u32 s2, s2, _ZL12ksigns_iq2xs@rel32@lo+4
	s_addc_u32 s3, s3, _ZL12ksigns_iq2xs@rel32@hi+12
	v_lshlrev_b32_e32 v4, 6, v4
	v_and_b32_e32 v0, 0x3f8, v0
	v_add_co_u32_e32 v4, vcc, s4, v4
	v_lshlrev_b32_e32 v0, 1, v0
	s_waitcnt vmcnt(2)
	v_lshlrev_b32_sdwa v6, v5, v8 dst_sel:DWORD dst_unused:UNUSED_PAD src0_sel:DWORD src1_sel:BYTE_0
	v_lshlrev_b32_sdwa v5, v5, v8 dst_sel:DWORD dst_unused:UNUSED_PAD src0_sel:DWORD src1_sel:BYTE_1
	s_waitcnt vmcnt(1)
	v_bfe_u32 v1, v2, v1, 7
	global_load_dword v7, v6, s[0:1]
	global_load_sbyte v8, v1, s[2:3]
	global_load_dword v9, v5, s[0:1]
	v_mov_b32_e32 v5, s5
	v_addc_co_u32_e32 v5, vcc, 0, v5, vcc
	v_add_co_u32_e32 v4, vcc, v4, v0
	s_waitcnt vmcnt(3)
	v_cvt_f32_f16_e32 v0, v3
	v_lshrrev_b32_e32 v2, 28, v2
	v_cvt_f32_ubyte0_e32 v2, v2
	v_add_f32_e32 v2, 0.5, v2
	v_mul_f32_e32 v0, v2, v0
	v_addc_co_u32_e32 v5, vcc, 0, v5, vcc
	v_mul_f32_e32 v0, 0.5, v0
	s_waitcnt vmcnt(2)
	v_cvt_f32_ubyte0_e32 v2, v7
	s_waitcnt vmcnt(1)
	v_and_b32_e32 v3, 1, v8
	s_waitcnt vmcnt(0)
	v_cvt_f32_ubyte0_e32 v6, v9
	v_and_b32_e32 v10, 16, v8
	v_mul_f32_e32 v2, v0, v2
	v_cmp_eq_u16_e32 vcc, 0, v3
	v_cvt_f32_ubyte1_e32 v11, v7
	v_and_b32_e32 v12, 2, v8
	v_mul_f32_e32 v6, v0, v6
	v_cndmask_b32_e64 v2, -v2, v2, vcc
	v_cmp_eq_u16_e32 vcc, 0, v10
	v_cvt_f32_ubyte1_e32 v13, v9
	v_and_b32_e32 v14, 32, v8
	v_mul_f32_e32 v11, v0, v11
	v_cndmask_b32_e64 v3, -v6, v6, vcc
	v_cmp_eq_u16_e32 vcc, 0, v12
	v_cvt_f32_ubyte2_e32 v15, v7
	v_and_b32_e32 v16, 4, v8
	v_cvt_f32_ubyte2_e32 v17, v9
	v_cvt_f32_ubyte3_e32 v7, v7
	v_cvt_f32_ubyte3_e32 v9, v9
	v_mul_f32_e32 v13, v0, v13
	v_cndmask_b32_e64 v6, -v11, v11, vcc
	v_cmp_eq_u16_e32 vcc, 0, v14
	v_mul_f32_e32 v15, v0, v15
	v_mul_f32_e32 v17, v0, v17
	;; [unrolled: 1-line block ×4, first 2 shown]
	v_cndmask_b32_e64 v9, -v13, v13, vcc
	v_cmp_eq_u16_e32 vcc, 0, v16
	v_and_b32_e32 v18, 8, v8
	v_cndmask_b32_e64 v10, -v15, v15, vcc
	v_cmp_gt_u32_e32 vcc, 64, v1
	v_cndmask_b32_e64 v1, -v17, v17, vcc
	v_cmp_eq_u16_e32 vcc, 0, v18
	v_cndmask_b32_e64 v7, -v7, v7, vcc
	v_cmp_gt_i16_e32 vcc, 0, v8
	v_cndmask_b32_e64 v0, v0, -v0, vcc
	v_cvt_f16_f32_e32 v8, v2
	v_cvt_f16_f32_e32 v2, v3
	;; [unrolled: 1-line block ×8, first 2 shown]
	v_pack_b32_f16 v3, v1, v0
	v_pack_b32_f16 v2, v2, v9
	v_pack_b32_f16 v1, v10, v7
	v_pack_b32_f16 v0, v8, v6
	global_store_dwordx4 v[4:5], v[0:3], off
	s_endpgm
	.section	.rodata,"a",@progbits
	.p2align	6, 0x0
	.amdhsa_kernel _ZL24dequantize_block_iq3_xxsI6__halfEvPKvPT_
		.amdhsa_group_segment_fixed_size 0
		.amdhsa_private_segment_fixed_size 0
		.amdhsa_kernarg_size 16
		.amdhsa_user_sgpr_count 6
		.amdhsa_user_sgpr_private_segment_buffer 1
		.amdhsa_user_sgpr_dispatch_ptr 0
		.amdhsa_user_sgpr_queue_ptr 0
		.amdhsa_user_sgpr_kernarg_segment_ptr 1
		.amdhsa_user_sgpr_dispatch_id 0
		.amdhsa_user_sgpr_flat_scratch_init 0
		.amdhsa_user_sgpr_kernarg_preload_length 0
		.amdhsa_user_sgpr_kernarg_preload_offset 0
		.amdhsa_user_sgpr_private_segment_size 0
		.amdhsa_uses_dynamic_stack 0
		.amdhsa_system_sgpr_private_segment_wavefront_offset 0
		.amdhsa_system_sgpr_workgroup_id_x 1
		.amdhsa_system_sgpr_workgroup_id_y 0
		.amdhsa_system_sgpr_workgroup_id_z 0
		.amdhsa_system_sgpr_workgroup_info 0
		.amdhsa_system_vgpr_workitem_id 0
		.amdhsa_next_free_vgpr 19
		.amdhsa_next_free_sgpr 8
		.amdhsa_accum_offset 20
		.amdhsa_reserve_vcc 1
		.amdhsa_reserve_flat_scratch 0
		.amdhsa_float_round_mode_32 0
		.amdhsa_float_round_mode_16_64 0
		.amdhsa_float_denorm_mode_32 3
		.amdhsa_float_denorm_mode_16_64 3
		.amdhsa_dx10_clamp 1
		.amdhsa_ieee_mode 1
		.amdhsa_fp16_overflow 0
		.amdhsa_tg_split 0
		.amdhsa_exception_fp_ieee_invalid_op 0
		.amdhsa_exception_fp_denorm_src 0
		.amdhsa_exception_fp_ieee_div_zero 0
		.amdhsa_exception_fp_ieee_overflow 0
		.amdhsa_exception_fp_ieee_underflow 0
		.amdhsa_exception_fp_ieee_inexact 0
		.amdhsa_exception_int_div_zero 0
	.end_amdhsa_kernel
	.section	.text._ZL24dequantize_block_iq3_xxsI6__halfEvPKvPT_,"axG",@progbits,_ZL24dequantize_block_iq3_xxsI6__halfEvPKvPT_,comdat
.Lfunc_end12:
	.size	_ZL24dequantize_block_iq3_xxsI6__halfEvPKvPT_, .Lfunc_end12-_ZL24dequantize_block_iq3_xxsI6__halfEvPKvPT_
                                        ; -- End function
	.section	.AMDGPU.csdata,"",@progbits
; Kernel info:
; codeLenInByte = 568
; NumSgprs: 12
; NumVgprs: 19
; NumAgprs: 0
; TotalNumVgprs: 19
; ScratchSize: 0
; MemoryBound: 0
; FloatMode: 240
; IeeeMode: 1
; LDSByteSize: 0 bytes/workgroup (compile time only)
; SGPRBlocks: 1
; VGPRBlocks: 2
; NumSGPRsForWavesPerEU: 12
; NumVGPRsForWavesPerEU: 19
; AccumOffset: 20
; Occupancy: 8
; WaveLimiterHint : 0
; COMPUTE_PGM_RSRC2:SCRATCH_EN: 0
; COMPUTE_PGM_RSRC2:USER_SGPR: 6
; COMPUTE_PGM_RSRC2:TRAP_HANDLER: 0
; COMPUTE_PGM_RSRC2:TGID_X_EN: 1
; COMPUTE_PGM_RSRC2:TGID_Y_EN: 0
; COMPUTE_PGM_RSRC2:TGID_Z_EN: 0
; COMPUTE_PGM_RSRC2:TIDIG_COMP_CNT: 0
; COMPUTE_PGM_RSRC3_GFX90A:ACCUM_OFFSET: 4
; COMPUTE_PGM_RSRC3_GFX90A:TG_SPLIT: 0
	.section	.text._ZL22dequantize_block_iq1_sI6__halfEvPKvPT_,"axG",@progbits,_ZL22dequantize_block_iq1_sI6__halfEvPKvPT_,comdat
	.globl	_ZL22dequantize_block_iq1_sI6__halfEvPKvPT_ ; -- Begin function _ZL22dequantize_block_iq1_sI6__halfEvPKvPT_
	.p2align	8
	.type	_ZL22dequantize_block_iq1_sI6__halfEvPKvPT_,@function
_ZL22dequantize_block_iq1_sI6__halfEvPKvPT_: ; @_ZL22dequantize_block_iq1_sI6__halfEvPKvPT_
; %bb.0:
	s_load_dwordx4 s[0:3], s[4:5], 0x0
	s_mov_b32 s7, 0
	s_lshl_b64 s[4:5], s[6:7], 9
	v_and_b32_e32 v4, 7, v0
	v_lshlrev_b32_e32 v2, 1, v4
	s_waitcnt lgkmcnt(0)
	s_add_u32 s4, s2, s4
	s_addc_u32 s5, s3, s5
	s_mul_i32 s3, s6, 50
	s_mul_hi_u32 s2, s6, 50
	s_add_u32 s0, s0, s3
	s_addc_u32 s1, s1, s2
	v_lshrrev_b32_e32 v1, 3, v0
	global_load_ushort v6, v2, s[0:1] offset:34
	v_lshlrev_b32_e32 v2, 2, v4
	v_add_co_u32_e32 v2, vcc, v2, v1
	v_addc_co_u32_e64 v3, s[2:3], 0, 0, vcc
	v_mov_b32_e32 v5, s1
	v_add_co_u32_e32 v2, vcc, s0, v2
	v_addc_co_u32_e32 v3, vcc, v5, v3, vcc
	global_load_ubyte v2, v[2:3], off offset:2
	v_mov_b32_e32 v3, 0
	v_mul_u32_u24_e32 v1, 3, v1
	global_load_ushort v3, v3, s[0:1]
	s_movk_i32 s6, 0x700
	s_getpc_b64 s[2:3]
	s_add_u32 s2, s2, _ZL13iq1s_grid_gpu@rel32@lo+4
	s_addc_u32 s3, s3, _ZL13iq1s_grid_gpu@rel32@hi+12
	v_lshlrev_b32_e32 v4, 6, v4
	v_and_b32_e32 v0, 0x3f8, v0
	v_mov_b32_e32 v5, s5
	v_add_co_u32_e32 v4, vcc, s4, v4
	v_lshlrev_b32_e32 v0, 1, v0
	v_addc_co_u32_e32 v5, vcc, 0, v5, vcc
	v_add_co_u32_e32 v4, vcc, v4, v0
	v_addc_co_u32_e32 v5, vcc, 0, v5, vcc
	v_mov_b32_e32 v7, 0xbf600000
	s_waitcnt vmcnt(2)
	v_lshrrev_b32_sdwa v1, v1, v6 dst_sel:DWORD dst_unused:UNUSED_PAD src0_sel:DWORD src1_sel:WORD_0
	v_lshlrev_b32_e32 v1, 8, v1
	v_cmp_lt_i16_e32 vcc, -1, v6
	s_waitcnt vmcnt(1)
	v_and_or_b32 v1, v1, s6, v2
	v_lshlrev_b32_e32 v1, 2, v1
	global_load_dword v1, v1, s[2:3]
	v_mov_b32_e32 v2, 0xbf900000
	v_cndmask_b32_e32 v0, v2, v7, vcc
	v_lshrrev_b16_e32 v2, 11, v6
	s_waitcnt vmcnt(1)
	v_cvt_f32_f16_e32 v3, v3
	v_and_b32_e32 v2, 14, v2
	v_or_b32_e32 v2, 1, v2
	v_cvt_f32_ubyte0_e32 v2, v2
	v_mul_f32_e32 v2, v3, v2
	s_waitcnt vmcnt(0)
	v_and_b32_e32 v3, 0xf0f0f0f, v1
	v_bfe_u32 v6, v1, 16, 4
	v_bfe_u32 v8, v1, 8, 4
	v_and_b32_e32 v10, 15, v1
	v_lshrrev_b32_e32 v11, 28, v1
	v_bfe_u32 v12, v1, 20, 4
	v_bfe_u32 v13, v1, 12, 4
	;; [unrolled: 1-line block ×3, first 2 shown]
	v_cvt_f32_ubyte3_e32 v7, v3
	v_cvt_f32_ubyte0_e32 v6, v6
	v_cvt_f32_ubyte0_e32 v9, v8
	;; [unrolled: 1-line block ×7, first 2 shown]
	v_pk_add_f32 v[8:9], v[0:1], v[8:9] op_sel_hi:[0,1]
	v_pk_add_f32 v[6:7], v[0:1], v[6:7] op_sel_hi:[0,1]
	;; [unrolled: 1-line block ×4, first 2 shown]
	v_pk_mul_f32 v[6:7], v[2:3], v[6:7] op_sel_hi:[0,1]
	v_pk_mul_f32 v[8:9], v[2:3], v[8:9] op_sel_hi:[0,1]
	;; [unrolled: 1-line block ×4, first 2 shown]
	v_cvt_f16_f32_e32 v9, v9
	v_cvt_f16_f32_e32 v7, v7
	;; [unrolled: 1-line block ×8, first 2 shown]
	v_pack_b32_f16 v3, v0, v1
	v_pack_b32_f16 v2, v2, v10
	;; [unrolled: 1-line block ×4, first 2 shown]
	global_store_dwordx4 v[4:5], v[0:3], off
	s_endpgm
	.section	.rodata,"a",@progbits
	.p2align	6, 0x0
	.amdhsa_kernel _ZL22dequantize_block_iq1_sI6__halfEvPKvPT_
		.amdhsa_group_segment_fixed_size 0
		.amdhsa_private_segment_fixed_size 0
		.amdhsa_kernarg_size 16
		.amdhsa_user_sgpr_count 6
		.amdhsa_user_sgpr_private_segment_buffer 1
		.amdhsa_user_sgpr_dispatch_ptr 0
		.amdhsa_user_sgpr_queue_ptr 0
		.amdhsa_user_sgpr_kernarg_segment_ptr 1
		.amdhsa_user_sgpr_dispatch_id 0
		.amdhsa_user_sgpr_flat_scratch_init 0
		.amdhsa_user_sgpr_kernarg_preload_length 0
		.amdhsa_user_sgpr_kernarg_preload_offset 0
		.amdhsa_user_sgpr_private_segment_size 0
		.amdhsa_uses_dynamic_stack 0
		.amdhsa_system_sgpr_private_segment_wavefront_offset 0
		.amdhsa_system_sgpr_workgroup_id_x 1
		.amdhsa_system_sgpr_workgroup_id_y 0
		.amdhsa_system_sgpr_workgroup_id_z 0
		.amdhsa_system_sgpr_workgroup_info 0
		.amdhsa_system_vgpr_workitem_id 0
		.amdhsa_next_free_vgpr 14
		.amdhsa_next_free_sgpr 8
		.amdhsa_accum_offset 16
		.amdhsa_reserve_vcc 1
		.amdhsa_reserve_flat_scratch 0
		.amdhsa_float_round_mode_32 0
		.amdhsa_float_round_mode_16_64 0
		.amdhsa_float_denorm_mode_32 3
		.amdhsa_float_denorm_mode_16_64 3
		.amdhsa_dx10_clamp 1
		.amdhsa_ieee_mode 1
		.amdhsa_fp16_overflow 0
		.amdhsa_tg_split 0
		.amdhsa_exception_fp_ieee_invalid_op 0
		.amdhsa_exception_fp_denorm_src 0
		.amdhsa_exception_fp_ieee_div_zero 0
		.amdhsa_exception_fp_ieee_overflow 0
		.amdhsa_exception_fp_ieee_underflow 0
		.amdhsa_exception_fp_ieee_inexact 0
		.amdhsa_exception_int_div_zero 0
	.end_amdhsa_kernel
	.section	.text._ZL22dequantize_block_iq1_sI6__halfEvPKvPT_,"axG",@progbits,_ZL22dequantize_block_iq1_sI6__halfEvPKvPT_,comdat
.Lfunc_end13:
	.size	_ZL22dequantize_block_iq1_sI6__halfEvPKvPT_, .Lfunc_end13-_ZL22dequantize_block_iq1_sI6__halfEvPKvPT_
                                        ; -- End function
	.section	.AMDGPU.csdata,"",@progbits
; Kernel info:
; codeLenInByte = 500
; NumSgprs: 12
; NumVgprs: 14
; NumAgprs: 0
; TotalNumVgprs: 14
; ScratchSize: 0
; MemoryBound: 0
; FloatMode: 240
; IeeeMode: 1
; LDSByteSize: 0 bytes/workgroup (compile time only)
; SGPRBlocks: 1
; VGPRBlocks: 1
; NumSGPRsForWavesPerEU: 12
; NumVGPRsForWavesPerEU: 14
; AccumOffset: 16
; Occupancy: 8
; WaveLimiterHint : 0
; COMPUTE_PGM_RSRC2:SCRATCH_EN: 0
; COMPUTE_PGM_RSRC2:USER_SGPR: 6
; COMPUTE_PGM_RSRC2:TRAP_HANDLER: 0
; COMPUTE_PGM_RSRC2:TGID_X_EN: 1
; COMPUTE_PGM_RSRC2:TGID_Y_EN: 0
; COMPUTE_PGM_RSRC2:TGID_Z_EN: 0
; COMPUTE_PGM_RSRC2:TIDIG_COMP_CNT: 0
; COMPUTE_PGM_RSRC3_GFX90A:ACCUM_OFFSET: 3
; COMPUTE_PGM_RSRC3_GFX90A:TG_SPLIT: 0
	.section	.text._ZL22dequantize_block_iq1_mI6__halfEvPKvPT_,"axG",@progbits,_ZL22dequantize_block_iq1_mI6__halfEvPKvPT_,comdat
	.globl	_ZL22dequantize_block_iq1_mI6__halfEvPKvPT_ ; -- Begin function _ZL22dequantize_block_iq1_mI6__halfEvPKvPT_
	.p2align	8
	.type	_ZL22dequantize_block_iq1_mI6__halfEvPKvPT_,@function
_ZL22dequantize_block_iq1_mI6__halfEvPKvPT_: ; @_ZL22dequantize_block_iq1_mI6__halfEvPKvPT_
; %bb.0:
	s_load_dwordx4 s[0:3], s[4:5], 0x0
	s_mov_b32 s7, 0
	s_lshl_b64 s[4:5], s[6:7], 9
	v_and_b32_e32 v4, 7, v0
	v_lshlrev_b32_e32 v2, 1, v4
	s_waitcnt lgkmcnt(0)
	s_add_u32 s4, s2, s4
	s_addc_u32 s5, s3, s5
	s_mul_i32 s3, s6, 56
	s_mul_hi_u32 s2, s6, 56
	s_add_u32 s0, s0, s3
	v_lshrrev_b32_e32 v3, 4, v0
	s_addc_u32 s1, s1, s2
	v_add_co_u32_e32 v5, vcc, v2, v3
	v_addc_co_u32_e64 v3, s[2:3], 0, 0, vcc
	v_mov_b32_e32 v6, s1
	v_add_co_u32_e32 v2, vcc, s0, v5
	v_addc_co_u32_e32 v3, vcc, v6, v3, vcc
	v_lshrrev_b32_e32 v1, 3, v0
	global_load_ubyte v6, v[2:3], off offset:32
	v_lshlrev_b32_e32 v2, 2, v4
	v_add_co_u32_e32 v1, vcc, v2, v1
	v_addc_co_u32_e64 v3, s[2:3], 0, 0, vcc
	v_mov_b32_e32 v7, s1
	v_add_co_u32_e32 v2, vcc, s0, v1
	v_addc_co_u32_e32 v3, vcc, v7, v3, vcc
	global_load_ubyte v1, v[2:3], off
	v_mov_b32_e32 v2, 0
	global_load_dwordx2 v[2:3], v2, s[0:1] offset:48
	v_lshrrev_b32_e32 v7, 1, v5
	v_lshrrev_b32_e32 v8, 1, v0
	v_and_b32_e32 v7, 62, v7
	global_load_ushort v7, v7, s[0:1] offset:48
	v_and_b32_e32 v8, 4, v8
	s_movk_i32 s2, 0x700
	s_getpc_b64 s[0:1]
	s_add_u32 s0, s0, _ZL13iq1s_grid_gpu@rel32@lo+4
	s_addc_u32 s1, s1, _ZL13iq1s_grid_gpu@rel32@hi+12
	v_lshlrev_b32_e32 v4, 6, v4
	v_and_b32_e32 v5, 3, v5
	v_and_b32_e32 v0, 0x3f8, v0
	v_mul_u32_u24_e32 v11, 3, v5
	v_mov_b32_e32 v5, s5
	v_add_co_u32_e32 v4, vcc, s4, v4
	v_lshlrev_b32_e32 v0, 1, v0
	v_addc_co_u32_e32 v5, vcc, 0, v5, vcc
	v_add_co_u32_e32 v4, vcc, v4, v0
	v_addc_co_u32_e32 v5, vcc, 0, v5, vcc
	v_mov_b32_e32 v9, 0xbf900000
	v_mov_b32_e32 v10, 0xbf600000
	s_waitcnt vmcnt(3)
	v_lshrrev_b32_e32 v6, v8, v6
	v_lshlrev_b32_e32 v8, 8, v6
	s_waitcnt vmcnt(2)
	v_and_or_b32 v1, v8, s2, v1
	v_lshlrev_b32_e32 v1, 2, v1
	global_load_dword v1, v1, s[0:1]
	v_mov_b32_e32 v8, 0xffff
	s_waitcnt vmcnt(2)
	v_and_b32_sdwa v0, v8, v2 dst_sel:DWORD dst_unused:UNUSED_PAD src0_sel:DWORD src1_sel:WORD_1
	s_mov_b32 s0, 0x40008
	v_lshl_or_b32 v0, v3, 16, v0
	v_pk_lshrrev_b16 v0, s0, v0
	v_bfe_u32 v2, v2, 12, 4
	v_and_b32_e32 v0, 0xf0000f0, v0
	s_mov_b32 s1, 0xf000
	v_or_b32_e32 v2, v0, v2
	v_and_b32_sdwa v8, v3, s1 dst_sel:DWORD dst_unused:UNUSED_PAD src0_sel:WORD_1 src1_sel:DWORD
	v_or_b32_sdwa v0, v2, v0 dst_sel:DWORD dst_unused:UNUSED_PAD src0_sel:DWORD src1_sel:WORD_1
	v_or_b32_e32 v0, v0, v8
	s_waitcnt vmcnt(1)
	v_lshrrev_b32_e32 v7, v11, v7
	v_cvt_f32_f16_e32 v2, v0
	v_lshlrev_b32_e32 v3, 1, v7
	v_and_or_b32 v3, v3, 14, 1
	v_and_b32_e32 v0, 8, v6
	v_cvt_f32_ubyte0_e32 v3, v3
	v_cmp_eq_u32_e32 vcc, 0, v0
	v_cndmask_b32_e32 v0, v9, v10, vcc
	v_mul_f32_e32 v2, v2, v3
	s_waitcnt vmcnt(0)
	v_and_b32_e32 v3, 0xf0f0f0f, v1
	v_bfe_u32 v6, v1, 16, 4
	v_bfe_u32 v8, v1, 8, 4
	v_and_b32_e32 v10, 15, v1
	v_lshrrev_b32_e32 v11, 28, v1
	v_bfe_u32 v12, v1, 20, 4
	v_bfe_u32 v13, v1, 12, 4
	;; [unrolled: 1-line block ×3, first 2 shown]
	v_cvt_f32_ubyte3_e32 v7, v3
	v_cvt_f32_ubyte0_e32 v6, v6
	v_cvt_f32_ubyte0_e32 v9, v8
	;; [unrolled: 1-line block ×7, first 2 shown]
	v_pk_add_f32 v[8:9], v[0:1], v[8:9] op_sel_hi:[0,1]
	v_pk_add_f32 v[6:7], v[0:1], v[6:7] op_sel_hi:[0,1]
	;; [unrolled: 1-line block ×4, first 2 shown]
	v_pk_mul_f32 v[6:7], v[2:3], v[6:7] op_sel_hi:[0,1]
	v_pk_mul_f32 v[8:9], v[2:3], v[8:9] op_sel_hi:[0,1]
	;; [unrolled: 1-line block ×4, first 2 shown]
	v_cvt_f16_f32_e32 v9, v9
	v_cvt_f16_f32_e32 v7, v7
	;; [unrolled: 1-line block ×8, first 2 shown]
	v_pack_b32_f16 v3, v0, v1
	v_pack_b32_f16 v2, v2, v10
	;; [unrolled: 1-line block ×4, first 2 shown]
	global_store_dwordx4 v[4:5], v[0:3], off
	s_endpgm
	.section	.rodata,"a",@progbits
	.p2align	6, 0x0
	.amdhsa_kernel _ZL22dequantize_block_iq1_mI6__halfEvPKvPT_
		.amdhsa_group_segment_fixed_size 0
		.amdhsa_private_segment_fixed_size 0
		.amdhsa_kernarg_size 16
		.amdhsa_user_sgpr_count 6
		.amdhsa_user_sgpr_private_segment_buffer 1
		.amdhsa_user_sgpr_dispatch_ptr 0
		.amdhsa_user_sgpr_queue_ptr 0
		.amdhsa_user_sgpr_kernarg_segment_ptr 1
		.amdhsa_user_sgpr_dispatch_id 0
		.amdhsa_user_sgpr_flat_scratch_init 0
		.amdhsa_user_sgpr_kernarg_preload_length 0
		.amdhsa_user_sgpr_kernarg_preload_offset 0
		.amdhsa_user_sgpr_private_segment_size 0
		.amdhsa_uses_dynamic_stack 0
		.amdhsa_system_sgpr_private_segment_wavefront_offset 0
		.amdhsa_system_sgpr_workgroup_id_x 1
		.amdhsa_system_sgpr_workgroup_id_y 0
		.amdhsa_system_sgpr_workgroup_id_z 0
		.amdhsa_system_sgpr_workgroup_info 0
		.amdhsa_system_vgpr_workitem_id 0
		.amdhsa_next_free_vgpr 14
		.amdhsa_next_free_sgpr 8
		.amdhsa_accum_offset 16
		.amdhsa_reserve_vcc 1
		.amdhsa_reserve_flat_scratch 0
		.amdhsa_float_round_mode_32 0
		.amdhsa_float_round_mode_16_64 0
		.amdhsa_float_denorm_mode_32 3
		.amdhsa_float_denorm_mode_16_64 3
		.amdhsa_dx10_clamp 1
		.amdhsa_ieee_mode 1
		.amdhsa_fp16_overflow 0
		.amdhsa_tg_split 0
		.amdhsa_exception_fp_ieee_invalid_op 0
		.amdhsa_exception_fp_denorm_src 0
		.amdhsa_exception_fp_ieee_div_zero 0
		.amdhsa_exception_fp_ieee_overflow 0
		.amdhsa_exception_fp_ieee_underflow 0
		.amdhsa_exception_fp_ieee_inexact 0
		.amdhsa_exception_int_div_zero 0
	.end_amdhsa_kernel
	.section	.text._ZL22dequantize_block_iq1_mI6__halfEvPKvPT_,"axG",@progbits,_ZL22dequantize_block_iq1_mI6__halfEvPKvPT_,comdat
.Lfunc_end14:
	.size	_ZL22dequantize_block_iq1_mI6__halfEvPKvPT_, .Lfunc_end14-_ZL22dequantize_block_iq1_mI6__halfEvPKvPT_
                                        ; -- End function
	.section	.AMDGPU.csdata,"",@progbits
; Kernel info:
; codeLenInByte = 652
; NumSgprs: 12
; NumVgprs: 14
; NumAgprs: 0
; TotalNumVgprs: 14
; ScratchSize: 0
; MemoryBound: 0
; FloatMode: 240
; IeeeMode: 1
; LDSByteSize: 0 bytes/workgroup (compile time only)
; SGPRBlocks: 1
; VGPRBlocks: 1
; NumSGPRsForWavesPerEU: 12
; NumVGPRsForWavesPerEU: 14
; AccumOffset: 16
; Occupancy: 8
; WaveLimiterHint : 0
; COMPUTE_PGM_RSRC2:SCRATCH_EN: 0
; COMPUTE_PGM_RSRC2:USER_SGPR: 6
; COMPUTE_PGM_RSRC2:TRAP_HANDLER: 0
; COMPUTE_PGM_RSRC2:TGID_X_EN: 1
; COMPUTE_PGM_RSRC2:TGID_Y_EN: 0
; COMPUTE_PGM_RSRC2:TGID_Z_EN: 0
; COMPUTE_PGM_RSRC2:TIDIG_COMP_CNT: 0
; COMPUTE_PGM_RSRC3_GFX90A:ACCUM_OFFSET: 3
; COMPUTE_PGM_RSRC3_GFX90A:TG_SPLIT: 0
	.section	.text._ZL23dequantize_block_iq4_nlI6__halfEvPKvPT_,"axG",@progbits,_ZL23dequantize_block_iq4_nlI6__halfEvPKvPT_,comdat
	.globl	_ZL23dequantize_block_iq4_nlI6__halfEvPKvPT_ ; -- Begin function _ZL23dequantize_block_iq4_nlI6__halfEvPKvPT_
	.p2align	8
	.type	_ZL23dequantize_block_iq4_nlI6__halfEvPKvPT_,@function
_ZL23dequantize_block_iq4_nlI6__halfEvPKvPT_: ; @_ZL23dequantize_block_iq4_nlI6__halfEvPKvPT_
; %bb.0:
	s_load_dwordx4 s[0:3], s[4:5], 0x0
	s_mul_i32 s5, s6, 0x90
	s_mul_hi_u32 s4, s6, 0x90
	v_and_b32_e32 v4, 7, v0
	v_lshrrev_b32_e32 v0, 1, v0
	s_waitcnt lgkmcnt(0)
	s_add_u32 s0, s0, s5
	s_addc_u32 s1, s1, s4
	v_and_b32_e32 v5, 0x1fc, v0
	v_mad_u64_u32 v[0:1], s[0:1], v4, 18, s[0:1]
	v_add_co_u32_e32 v2, vcc, v0, v5
	v_addc_co_u32_e32 v3, vcc, 0, v1, vcc
	global_load_dword v6, v[2:3], off offset:2
	global_load_ushort v7, v[0:1], off
	s_mov_b32 s7, 0
	s_lshl_b64 s[0:1], s[6:7], 9
	s_add_u32 s2, s2, s0
	v_mov_b32_e32 v0, 4
	s_addc_u32 s3, s3, s1
	s_getpc_b64 s[0:1]
	s_add_u32 s0, s0, _ZL13kvalues_iq4nl@rel32@lo+4
	s_addc_u32 s1, s1, _ZL13kvalues_iq4nl@rel32@hi+12
	v_mov_b32_e32 v8, s1
	s_waitcnt vmcnt(1)
	v_and_b32_e32 v9, 15, v6
	v_lshrrev_b16_e32 v2, 4, v6
	v_lshrrev_b16_sdwa v0, v0, v6 dst_sel:DWORD dst_unused:UNUSED_PAD src0_sel:DWORD src1_sel:BYTE_3
	v_lshrrev_b32_e32 v1, 8, v6
	v_and_b32_e32 v2, 15, v2
	v_add_co_u32_e32 v0, vcc, s0, v0
	global_load_sbyte v9, v9, s[0:1]
	v_lshrrev_b16_e32 v3, 4, v1
	v_addc_co_u32_e32 v1, vcc, 0, v8, vcc
	v_and_b32_e32 v2, 0xffff, v2
	v_bfe_u32 v10, v6, 8, 4
	v_bfe_u32 v11, v6, 16, 4
	;; [unrolled: 1-line block ×4, first 2 shown]
	v_and_b32_e32 v6, 15, v3
	v_add_co_u32_e32 v2, vcc, s0, v2
	v_addc_co_u32_e32 v3, vcc, 0, v8, vcc
	v_and_b32_e32 v6, 0xffff, v6
	global_load_sbyte v14, v[2:3], off
	global_load_sbyte v15, v10, s[0:1]
	v_add_co_u32_e32 v2, vcc, s0, v6
	v_addc_co_u32_e32 v3, vcc, 0, v8, vcc
	global_load_sbyte v6, v[2:3], off
	global_load_sbyte v8, v11, s[0:1]
	global_load_sbyte v10, v12, s[0:1]
	;; [unrolled: 1-line block ×3, first 2 shown]
	global_load_sbyte v17, v[0:1], off
	v_lshlrev_b32_e32 v0, 6, v4
	v_mov_b32_e32 v2, s3
	v_add_co_u32_e32 v0, vcc, s2, v0
	v_lshlrev_b32_e32 v1, 1, v5
	v_addc_co_u32_e32 v2, vcc, 0, v2, vcc
	v_add_co_u32_e32 v0, vcc, v0, v1
	v_addc_co_u32_e32 v1, vcc, 0, v2, vcc
	s_waitcnt vmcnt(7)
	v_cvt_f32_i32_e32 v3, v9
	v_fma_mixlo_f16 v2, v7, v3, 0 op_sel_hi:[1,0,0]
	s_waitcnt vmcnt(6)
	v_cvt_f32_i32_e32 v4, v14
	s_waitcnt vmcnt(5)
	v_cvt_f32_i32_e32 v5, v15
	;; [unrolled: 2-line block ×7, first 2 shown]
	v_fma_mixlo_f16 v3, v7, v3, 0 op_sel_hi:[1,0,0]
	v_fma_mixlo_f16 v4, v7, v4, 0 op_sel_hi:[1,0,0]
	v_fma_mixhi_f16 v2, v7, v5, 0 op_sel_hi:[1,0,0]
	v_fma_mixlo_f16 v5, v7, v8, 0 op_sel_hi:[1,0,0]
	v_fma_mixhi_f16 v3, v7, v9, 0 op_sel_hi:[1,0,0]
	v_fma_mixhi_f16 v4, v7, v6, 0 op_sel_hi:[1,0,0]
	;; [unrolled: 1-line block ×3, first 2 shown]
	global_store_dwordx2 v[0:1], v[2:3], off
	global_store_dwordx2 v[0:1], v[4:5], off offset:32
	s_endpgm
	.section	.rodata,"a",@progbits
	.p2align	6, 0x0
	.amdhsa_kernel _ZL23dequantize_block_iq4_nlI6__halfEvPKvPT_
		.amdhsa_group_segment_fixed_size 0
		.amdhsa_private_segment_fixed_size 0
		.amdhsa_kernarg_size 16
		.amdhsa_user_sgpr_count 6
		.amdhsa_user_sgpr_private_segment_buffer 1
		.amdhsa_user_sgpr_dispatch_ptr 0
		.amdhsa_user_sgpr_queue_ptr 0
		.amdhsa_user_sgpr_kernarg_segment_ptr 1
		.amdhsa_user_sgpr_dispatch_id 0
		.amdhsa_user_sgpr_flat_scratch_init 0
		.amdhsa_user_sgpr_kernarg_preload_length 0
		.amdhsa_user_sgpr_kernarg_preload_offset 0
		.amdhsa_user_sgpr_private_segment_size 0
		.amdhsa_uses_dynamic_stack 0
		.amdhsa_system_sgpr_private_segment_wavefront_offset 0
		.amdhsa_system_sgpr_workgroup_id_x 1
		.amdhsa_system_sgpr_workgroup_id_y 0
		.amdhsa_system_sgpr_workgroup_id_z 0
		.amdhsa_system_sgpr_workgroup_info 0
		.amdhsa_system_vgpr_workitem_id 0
		.amdhsa_next_free_vgpr 18
		.amdhsa_next_free_sgpr 8
		.amdhsa_accum_offset 20
		.amdhsa_reserve_vcc 1
		.amdhsa_reserve_flat_scratch 0
		.amdhsa_float_round_mode_32 0
		.amdhsa_float_round_mode_16_64 0
		.amdhsa_float_denorm_mode_32 3
		.amdhsa_float_denorm_mode_16_64 3
		.amdhsa_dx10_clamp 1
		.amdhsa_ieee_mode 1
		.amdhsa_fp16_overflow 0
		.amdhsa_tg_split 0
		.amdhsa_exception_fp_ieee_invalid_op 0
		.amdhsa_exception_fp_denorm_src 0
		.amdhsa_exception_fp_ieee_div_zero 0
		.amdhsa_exception_fp_ieee_overflow 0
		.amdhsa_exception_fp_ieee_underflow 0
		.amdhsa_exception_fp_ieee_inexact 0
		.amdhsa_exception_int_div_zero 0
	.end_amdhsa_kernel
	.section	.text._ZL23dequantize_block_iq4_nlI6__halfEvPKvPT_,"axG",@progbits,_ZL23dequantize_block_iq4_nlI6__halfEvPKvPT_,comdat
.Lfunc_end15:
	.size	_ZL23dequantize_block_iq4_nlI6__halfEvPKvPT_, .Lfunc_end15-_ZL23dequantize_block_iq4_nlI6__halfEvPKvPT_
                                        ; -- End function
	.section	.AMDGPU.csdata,"",@progbits
; Kernel info:
; codeLenInByte = 476
; NumSgprs: 12
; NumVgprs: 18
; NumAgprs: 0
; TotalNumVgprs: 18
; ScratchSize: 0
; MemoryBound: 0
; FloatMode: 240
; IeeeMode: 1
; LDSByteSize: 0 bytes/workgroup (compile time only)
; SGPRBlocks: 1
; VGPRBlocks: 2
; NumSGPRsForWavesPerEU: 12
; NumVGPRsForWavesPerEU: 18
; AccumOffset: 20
; Occupancy: 8
; WaveLimiterHint : 0
; COMPUTE_PGM_RSRC2:SCRATCH_EN: 0
; COMPUTE_PGM_RSRC2:USER_SGPR: 6
; COMPUTE_PGM_RSRC2:TRAP_HANDLER: 0
; COMPUTE_PGM_RSRC2:TGID_X_EN: 1
; COMPUTE_PGM_RSRC2:TGID_Y_EN: 0
; COMPUTE_PGM_RSRC2:TGID_Z_EN: 0
; COMPUTE_PGM_RSRC2:TIDIG_COMP_CNT: 0
; COMPUTE_PGM_RSRC3_GFX90A:ACCUM_OFFSET: 4
; COMPUTE_PGM_RSRC3_GFX90A:TG_SPLIT: 0
	.section	.text._ZL23dequantize_block_iq4_xsI6__halfEvPKvPT_,"axG",@progbits,_ZL23dequantize_block_iq4_xsI6__halfEvPKvPT_,comdat
	.globl	_ZL23dequantize_block_iq4_xsI6__halfEvPKvPT_ ; -- Begin function _ZL23dequantize_block_iq4_xsI6__halfEvPKvPT_
	.p2align	8
	.type	_ZL23dequantize_block_iq4_xsI6__halfEvPKvPT_,@function
_ZL23dequantize_block_iq4_xsI6__halfEvPKvPT_: ; @_ZL23dequantize_block_iq4_xsI6__halfEvPKvPT_
; %bb.0:
	s_load_dwordx4 s[0:3], s[4:5], 0x0
	s_mov_b32 s7, 0
	s_lshl_b64 s[4:5], s[6:7], 9
	v_and_b32_e32 v1, 7, v0
	v_lshrrev_b32_e32 v2, 1, v0
	s_waitcnt lgkmcnt(0)
	s_add_u32 s2, s2, s4
	s_addc_u32 s3, s3, s5
	s_mul_i32 s5, s6, 0x88
	s_mul_hi_u32 s4, s6, 0x88
	s_add_u32 s0, s0, s5
	v_and_b32_e32 v6, 0x1fc, v2
	s_addc_u32 s1, s1, s4
	v_lshlrev_b32_e32 v2, 4, v1
	v_mov_b32_e32 v3, s1
	v_add_co_u32_e32 v2, vcc, s0, v2
	v_addc_co_u32_e32 v3, vcc, 0, v3, vcc
	v_add_co_u32_e32 v2, vcc, v2, v6
	v_addc_co_u32_e32 v3, vcc, 0, v3, vcc
	global_load_dword v2, v[2:3], off offset:8
	v_mov_b32_e32 v3, 0
	global_load_dword v7, v3, s[0:1]
	v_bfe_u32 v3, v0, 1, 2
	global_load_ubyte v8, v3, s[0:1] offset:4
	v_mov_b32_e32 v3, 4
	s_getpc_b64 s[0:1]
	s_add_u32 s0, s0, _ZL13kvalues_iq4nl@rel32@lo+4
	s_addc_u32 s1, s1, _ZL13kvalues_iq4nl@rel32@hi+12
	v_mov_b32_e32 v9, s1
	v_lshlrev_b32_e32 v0, 2, v0
	v_and_b32_e32 v0, 4, v0
	s_waitcnt vmcnt(2)
	v_lshrrev_b32_e32 v4, 8, v2
	v_and_b32_e32 v10, 15, v2
	v_lshrrev_b16_e32 v5, 4, v2
	v_bfe_u32 v11, v2, 8, 4
	v_bfe_u32 v12, v2, 16, 4
	;; [unrolled: 1-line block ×4, first 2 shown]
	v_lshrrev_b16_sdwa v2, v3, v2 dst_sel:DWORD dst_unused:UNUSED_PAD src0_sel:DWORD src1_sel:BYTE_3
	v_and_b32_e32 v5, 15, v5
	v_add_co_u32_e32 v2, vcc, s0, v2
	v_lshrrev_b16_e32 v4, 4, v4
	v_addc_co_u32_e32 v3, vcc, 0, v9, vcc
	v_and_b32_e32 v5, 0xffff, v5
	v_and_b32_e32 v15, 15, v4
	v_add_co_u32_e32 v4, vcc, s0, v5
	v_addc_co_u32_e32 v5, vcc, 0, v9, vcc
	v_and_b32_e32 v15, 0xffff, v15
	global_load_sbyte v16, v10, s[0:1]
	global_load_sbyte v17, v[4:5], off
	global_load_sbyte v18, v11, s[0:1]
	v_add_co_u32_e32 v4, vcc, s0, v15
	v_addc_co_u32_e32 v5, vcc, 0, v9, vcc
	global_load_sbyte v9, v[4:5], off
	global_load_sbyte v10, v12, s[0:1]
	global_load_sbyte v11, v13, s[0:1]
	;; [unrolled: 1-line block ×3, first 2 shown]
	global_load_sbyte v19, v[2:3], off
	v_lshlrev_b32_e32 v2, 6, v1
	v_lshlrev_b32_e32 v1, 1, v1
	s_waitcnt vmcnt(9)
	v_lshrrev_b32_sdwa v1, v1, v7 dst_sel:DWORD dst_unused:UNUSED_PAD src0_sel:DWORD src1_sel:WORD_1
	s_waitcnt vmcnt(8)
	v_bfe_u32 v0, v8, v0, 4
	v_lshlrev_b32_e32 v1, 4, v1
	v_and_or_b32 v0, v1, 48, v0
	v_subrev_u32_e32 v0, 32, v0
	v_lshlrev_b32_e32 v3, 1, v6
	v_cvt_f32_f16_e32 v5, v7
	v_cvt_f32_i32_e32 v6, v0
	v_mov_b32_e32 v4, s3
	v_add_co_u32_e32 v2, vcc, s2, v2
	v_addc_co_u32_e32 v4, vcc, 0, v4, vcc
	v_add_co_u32_e32 v0, vcc, v2, v3
	v_mul_f32_e32 v6, v5, v6
	v_addc_co_u32_e32 v1, vcc, 0, v4, vcc
	s_waitcnt vmcnt(7)
	v_cvt_f32_i32_e32 v2, v16
	s_waitcnt vmcnt(6)
	v_cvt_f32_i32_e32 v3, v17
	;; [unrolled: 2-line block ×8, first 2 shown]
	v_fma_mixlo_f16 v2, v6, v2, 0
	v_fma_mixlo_f16 v4, v6, v3, 0
	v_fma_mixlo_f16 v3, v6, v8, 0
	v_fma_mixhi_f16 v2, v6, v5, 0
	v_fma_mixlo_f16 v5, v6, v9, 0
	v_fma_mixhi_f16 v3, v6, v10, 0
	v_fma_mixhi_f16 v4, v6, v7, 0
	v_fma_mixhi_f16 v5, v6, v11, 0
	global_store_dwordx2 v[0:1], v[2:3], off
	global_store_dwordx2 v[0:1], v[4:5], off offset:32
	s_endpgm
	.section	.rodata,"a",@progbits
	.p2align	6, 0x0
	.amdhsa_kernel _ZL23dequantize_block_iq4_xsI6__halfEvPKvPT_
		.amdhsa_group_segment_fixed_size 0
		.amdhsa_private_segment_fixed_size 0
		.amdhsa_kernarg_size 16
		.amdhsa_user_sgpr_count 6
		.amdhsa_user_sgpr_private_segment_buffer 1
		.amdhsa_user_sgpr_dispatch_ptr 0
		.amdhsa_user_sgpr_queue_ptr 0
		.amdhsa_user_sgpr_kernarg_segment_ptr 1
		.amdhsa_user_sgpr_dispatch_id 0
		.amdhsa_user_sgpr_flat_scratch_init 0
		.amdhsa_user_sgpr_kernarg_preload_length 0
		.amdhsa_user_sgpr_kernarg_preload_offset 0
		.amdhsa_user_sgpr_private_segment_size 0
		.amdhsa_uses_dynamic_stack 0
		.amdhsa_system_sgpr_private_segment_wavefront_offset 0
		.amdhsa_system_sgpr_workgroup_id_x 1
		.amdhsa_system_sgpr_workgroup_id_y 0
		.amdhsa_system_sgpr_workgroup_id_z 0
		.amdhsa_system_sgpr_workgroup_info 0
		.amdhsa_system_vgpr_workitem_id 0
		.amdhsa_next_free_vgpr 20
		.amdhsa_next_free_sgpr 8
		.amdhsa_accum_offset 20
		.amdhsa_reserve_vcc 1
		.amdhsa_reserve_flat_scratch 0
		.amdhsa_float_round_mode_32 0
		.amdhsa_float_round_mode_16_64 0
		.amdhsa_float_denorm_mode_32 3
		.amdhsa_float_denorm_mode_16_64 3
		.amdhsa_dx10_clamp 1
		.amdhsa_ieee_mode 1
		.amdhsa_fp16_overflow 0
		.amdhsa_tg_split 0
		.amdhsa_exception_fp_ieee_invalid_op 0
		.amdhsa_exception_fp_denorm_src 0
		.amdhsa_exception_fp_ieee_div_zero 0
		.amdhsa_exception_fp_ieee_overflow 0
		.amdhsa_exception_fp_ieee_underflow 0
		.amdhsa_exception_fp_ieee_inexact 0
		.amdhsa_exception_int_div_zero 0
	.end_amdhsa_kernel
	.section	.text._ZL23dequantize_block_iq4_xsI6__halfEvPKvPT_,"axG",@progbits,_ZL23dequantize_block_iq4_xsI6__halfEvPKvPT_,comdat
.Lfunc_end16:
	.size	_ZL23dequantize_block_iq4_xsI6__halfEvPKvPT_, .Lfunc_end16-_ZL23dequantize_block_iq4_xsI6__halfEvPKvPT_
                                        ; -- End function
	.section	.AMDGPU.csdata,"",@progbits
; Kernel info:
; codeLenInByte = 568
; NumSgprs: 12
; NumVgprs: 20
; NumAgprs: 0
; TotalNumVgprs: 20
; ScratchSize: 0
; MemoryBound: 0
; FloatMode: 240
; IeeeMode: 1
; LDSByteSize: 0 bytes/workgroup (compile time only)
; SGPRBlocks: 1
; VGPRBlocks: 2
; NumSGPRsForWavesPerEU: 12
; NumVGPRsForWavesPerEU: 20
; AccumOffset: 20
; Occupancy: 8
; WaveLimiterHint : 0
; COMPUTE_PGM_RSRC2:SCRATCH_EN: 0
; COMPUTE_PGM_RSRC2:USER_SGPR: 6
; COMPUTE_PGM_RSRC2:TRAP_HANDLER: 0
; COMPUTE_PGM_RSRC2:TGID_X_EN: 1
; COMPUTE_PGM_RSRC2:TGID_Y_EN: 0
; COMPUTE_PGM_RSRC2:TGID_Z_EN: 0
; COMPUTE_PGM_RSRC2:TIDIG_COMP_CNT: 0
; COMPUTE_PGM_RSRC3_GFX90A:ACCUM_OFFSET: 4
; COMPUTE_PGM_RSRC3_GFX90A:TG_SPLIT: 0
	.section	.text._ZL22dequantize_block_iq3_sI6__halfEvPKvPT_,"axG",@progbits,_ZL22dequantize_block_iq3_sI6__halfEvPKvPT_,comdat
	.globl	_ZL22dequantize_block_iq3_sI6__halfEvPKvPT_ ; -- Begin function _ZL22dequantize_block_iq3_sI6__halfEvPKvPT_
	.p2align	8
	.type	_ZL22dequantize_block_iq3_sI6__halfEvPKvPT_,@function
_ZL22dequantize_block_iq3_sI6__halfEvPKvPT_: ; @_ZL22dequantize_block_iq3_sI6__halfEvPKvPT_
; %bb.0:
	s_load_dwordx4 s[0:3], s[4:5], 0x0
	s_mov_b32 s7, 0
	s_lshl_b64 s[4:5], s[6:7], 9
	v_and_b32_e32 v4, 7, v0
	v_lshlrev_b32_e32 v2, 3, v4
	s_waitcnt lgkmcnt(0)
	s_add_u32 s4, s2, s4
	s_addc_u32 s5, s3, s5
	s_mul_i32 s3, s6, 0x6e
	s_mul_hi_u32 s2, s6, 0x6e
	s_add_u32 s0, s0, s3
	s_addc_u32 s1, s1, s2
	v_lshrrev_b32_e32 v1, 3, v0
	v_mov_b32_e32 v3, s1
	v_add_co_u32_e32 v2, vcc, s0, v2
	v_addc_co_u32_e32 v3, vcc, 0, v3, vcc
	v_lshlrev_b32_e32 v5, 1, v1
	v_add_co_u32_e32 v2, vcc, v2, v5
	v_addc_co_u32_e32 v3, vcc, 0, v3, vcc
	global_load_ubyte v6, v4, s[0:1] offset:66
	global_load_ushort v7, v[2:3], off offset:2
	v_lshlrev_b32_e32 v2, 2, v4
	v_add_co_u32_e32 v1, vcc, v2, v1
	v_bfe_u32 v9, v0, 1, 2
	v_addc_co_u32_e64 v3, s[2:3], 0, 0, vcc
	v_mov_b32_e32 v10, s1
	v_add_co_u32_e32 v2, vcc, s0, v1
	v_mov_b32_e32 v8, 0
	v_addc_co_u32_e32 v3, vcc, v10, v3, vcc
	global_load_ubyte v1, v9, s[0:1] offset:106
	global_load_sbyte v10, v[2:3], off offset:74
	global_load_ushort v11, v8, s[0:1]
	v_sub_u32_e32 v2, 8, v5
	s_movk_i32 s2, 0x100
	v_sub_u32_e32 v3, 7, v5
	s_getpc_b64 s[0:1]
	s_add_u32 s0, s0, _ZL9iq3s_grid@rel32@lo+4
	s_addc_u32 s1, s1, _ZL9iq3s_grid@rel32@hi+12
	s_waitcnt vmcnt(4)
	v_lshlrev_b32_e32 v2, v2, v6
	s_waitcnt vmcnt(3)
	v_and_b32_e32 v5, 0xff, v7
	v_lshlrev_b32_e32 v3, v3, v6
	v_lshrrev_b16_e32 v6, 8, v7
	v_and_or_b32 v2, v2, s2, v5
	v_and_or_b32 v3, v3, s2, v6
	v_lshlrev_b32_e32 v2, 2, v2
	v_lshlrev_b32_e32 v3, 2, v3
	global_load_dword v6, v2, s[0:1]
	global_load_dword v7, v3, s[0:1]
	v_lshlrev_b32_e32 v3, 6, v4
	v_and_b32_e32 v2, 0x3f8, v0
	v_lshlrev_b32_e32 v0, 2, v0
	v_mov_b32_e32 v4, s5
	v_add_co_u32_e32 v3, vcc, s4, v3
	v_lshlrev_b32_e32 v2, 1, v2
	v_and_b32_e32 v0, 4, v0
	v_addc_co_u32_e32 v5, vcc, 0, v4, vcc
	v_add_co_u32_e32 v4, vcc, v3, v2
	s_waitcnt vmcnt(2)
	v_cvt_f32_f16_e32 v2, v11
	v_lshrrev_b32_e32 v0, v0, v1
	v_lshlrev_b32_e32 v0, 1, v0
	v_and_or_b32 v0, v0, 30, 1
	v_cvt_f32_ubyte0_e32 v0, v0
	v_addc_co_u32_e32 v5, vcc, 0, v5, vcc
	v_and_b32_e32 v1, 1, v10
	v_mul_f32_e32 v0, v2, v0
	v_and_b32_e32 v3, 16, v10
	v_cmp_eq_u16_e32 vcc, 0, v1
	v_and_b32_e32 v8, 2, v10
	v_and_b32_e32 v9, 32, v10
	;; [unrolled: 1-line block ×5, first 2 shown]
	s_waitcnt vmcnt(1)
	v_cvt_f32_ubyte0_e32 v2, v6
	s_waitcnt vmcnt(0)
	v_cvt_f32_ubyte0_e32 v14, v7
	v_mul_f32_e32 v2, v0, v2
	v_cvt_f32_ubyte1_e32 v15, v6
	v_mul_f32_e32 v14, v0, v14
	v_cndmask_b32_e64 v1, -v2, v2, vcc
	v_cmp_eq_u16_e32 vcc, 0, v3
	v_cvt_f32_ubyte1_e32 v16, v7
	v_mul_f32_e32 v15, v0, v15
	v_cndmask_b32_e64 v2, -v14, v14, vcc
	v_cmp_eq_u16_e32 vcc, 0, v8
	v_cvt_f32_ubyte2_e32 v17, v6
	v_cvt_f32_ubyte2_e32 v18, v7
	v_cvt_f32_ubyte3_e32 v6, v6
	v_cvt_f32_ubyte3_e32 v7, v7
	v_mul_f32_e32 v16, v0, v16
	v_cndmask_b32_e64 v3, -v15, v15, vcc
	v_cmp_eq_u16_e32 vcc, 0, v9
	v_mul_f32_e32 v17, v0, v17
	v_mul_f32_e32 v18, v0, v18
	;; [unrolled: 1-line block ×4, first 2 shown]
	v_cndmask_b32_e64 v7, -v16, v16, vcc
	v_cmp_eq_u16_e32 vcc, 0, v11
	v_cndmask_b32_e64 v8, -v17, v17, vcc
	v_cmp_eq_u16_e32 vcc, 0, v12
	;; [unrolled: 2-line block ×3, first 2 shown]
	v_cndmask_b32_e64 v6, -v6, v6, vcc
	v_cmp_gt_i16_e32 vcc, 0, v10
	v_cndmask_b32_e64 v0, v0, -v0, vcc
	v_cvt_f16_f32_e32 v10, v1
	v_cvt_f16_f32_e32 v1, v2
	;; [unrolled: 1-line block ×8, first 2 shown]
	v_pack_b32_f16 v3, v7, v0
	v_pack_b32_f16 v2, v1, v2
	;; [unrolled: 1-line block ×4, first 2 shown]
	global_store_dwordx4 v[4:5], v[0:3], off
	s_endpgm
	.section	.rodata,"a",@progbits
	.p2align	6, 0x0
	.amdhsa_kernel _ZL22dequantize_block_iq3_sI6__halfEvPKvPT_
		.amdhsa_group_segment_fixed_size 0
		.amdhsa_private_segment_fixed_size 0
		.amdhsa_kernarg_size 16
		.amdhsa_user_sgpr_count 6
		.amdhsa_user_sgpr_private_segment_buffer 1
		.amdhsa_user_sgpr_dispatch_ptr 0
		.amdhsa_user_sgpr_queue_ptr 0
		.amdhsa_user_sgpr_kernarg_segment_ptr 1
		.amdhsa_user_sgpr_dispatch_id 0
		.amdhsa_user_sgpr_flat_scratch_init 0
		.amdhsa_user_sgpr_kernarg_preload_length 0
		.amdhsa_user_sgpr_kernarg_preload_offset 0
		.amdhsa_user_sgpr_private_segment_size 0
		.amdhsa_uses_dynamic_stack 0
		.amdhsa_system_sgpr_private_segment_wavefront_offset 0
		.amdhsa_system_sgpr_workgroup_id_x 1
		.amdhsa_system_sgpr_workgroup_id_y 0
		.amdhsa_system_sgpr_workgroup_id_z 0
		.amdhsa_system_sgpr_workgroup_info 0
		.amdhsa_system_vgpr_workitem_id 0
		.amdhsa_next_free_vgpr 19
		.amdhsa_next_free_sgpr 8
		.amdhsa_accum_offset 20
		.amdhsa_reserve_vcc 1
		.amdhsa_reserve_flat_scratch 0
		.amdhsa_float_round_mode_32 0
		.amdhsa_float_round_mode_16_64 0
		.amdhsa_float_denorm_mode_32 3
		.amdhsa_float_denorm_mode_16_64 3
		.amdhsa_dx10_clamp 1
		.amdhsa_ieee_mode 1
		.amdhsa_fp16_overflow 0
		.amdhsa_tg_split 0
		.amdhsa_exception_fp_ieee_invalid_op 0
		.amdhsa_exception_fp_denorm_src 0
		.amdhsa_exception_fp_ieee_div_zero 0
		.amdhsa_exception_fp_ieee_overflow 0
		.amdhsa_exception_fp_ieee_underflow 0
		.amdhsa_exception_fp_ieee_inexact 0
		.amdhsa_exception_int_div_zero 0
	.end_amdhsa_kernel
	.section	.text._ZL22dequantize_block_iq3_sI6__halfEvPKvPT_,"axG",@progbits,_ZL22dequantize_block_iq3_sI6__halfEvPKvPT_,comdat
.Lfunc_end17:
	.size	_ZL22dequantize_block_iq3_sI6__halfEvPKvPT_, .Lfunc_end17-_ZL22dequantize_block_iq3_sI6__halfEvPKvPT_
                                        ; -- End function
	.section	.AMDGPU.csdata,"",@progbits
; Kernel info:
; codeLenInByte = 616
; NumSgprs: 12
; NumVgprs: 19
; NumAgprs: 0
; TotalNumVgprs: 19
; ScratchSize: 0
; MemoryBound: 0
; FloatMode: 240
; IeeeMode: 1
; LDSByteSize: 0 bytes/workgroup (compile time only)
; SGPRBlocks: 1
; VGPRBlocks: 2
; NumSGPRsForWavesPerEU: 12
; NumVGPRsForWavesPerEU: 19
; AccumOffset: 20
; Occupancy: 8
; WaveLimiterHint : 0
; COMPUTE_PGM_RSRC2:SCRATCH_EN: 0
; COMPUTE_PGM_RSRC2:USER_SGPR: 6
; COMPUTE_PGM_RSRC2:TRAP_HANDLER: 0
; COMPUTE_PGM_RSRC2:TGID_X_EN: 1
; COMPUTE_PGM_RSRC2:TGID_Y_EN: 0
; COMPUTE_PGM_RSRC2:TGID_Z_EN: 0
; COMPUTE_PGM_RSRC2:TIDIG_COMP_CNT: 0
; COMPUTE_PGM_RSRC3_GFX90A:ACCUM_OFFSET: 4
; COMPUTE_PGM_RSRC3_GFX90A:TG_SPLIT: 0
	.section	.text._ZL22dequantize_block_mxfp4I6__halfEvPKvPT_,"axG",@progbits,_ZL22dequantize_block_mxfp4I6__halfEvPKvPT_,comdat
	.globl	_ZL22dequantize_block_mxfp4I6__halfEvPKvPT_ ; -- Begin function _ZL22dequantize_block_mxfp4I6__halfEvPKvPT_
	.p2align	8
	.type	_ZL22dequantize_block_mxfp4I6__halfEvPKvPT_,@function
_ZL22dequantize_block_mxfp4I6__halfEvPKvPT_: ; @_ZL22dequantize_block_mxfp4I6__halfEvPKvPT_
; %bb.0:
	s_load_dwordx4 s[0:3], s[4:5], 0x0
	s_mul_i32 s5, s6, 0x88
	s_mul_hi_u32 s4, s6, 0x88
	v_and_b32_e32 v4, 7, v0
	v_lshrrev_b32_e32 v0, 1, v0
	s_waitcnt lgkmcnt(0)
	s_add_u32 s0, s0, s5
	s_addc_u32 s1, s1, s4
	v_and_b32_e32 v5, 0x1fc, v0
	v_mad_u64_u32 v[0:1], s[0:1], v4, 17, s[0:1]
	v_add_co_u32_e32 v2, vcc, v0, v5
	v_addc_co_u32_e32 v3, vcc, 0, v1, vcc
	global_load_dword v6, v[2:3], off offset:1
	global_load_ubyte v7, v[0:1], off
	s_mov_b32 s7, 0
	s_lshl_b64 s[0:1], s[6:7], 9
	s_add_u32 s2, s2, s0
	v_mov_b32_e32 v0, 4
	s_addc_u32 s3, s3, s1
	s_getpc_b64 s[0:1]
	s_add_u32 s0, s0, _ZL13kvalues_mxfp4@rel32@lo+4
	s_addc_u32 s1, s1, _ZL13kvalues_mxfp4@rel32@hi+12
	v_mov_b32_e32 v8, s1
	s_waitcnt vmcnt(1)
	v_lshrrev_b16_e32 v2, 4, v6
	v_lshrrev_b16_sdwa v0, v0, v6 dst_sel:DWORD dst_unused:UNUSED_PAD src0_sel:DWORD src1_sel:BYTE_3
	v_lshrrev_b32_e32 v1, 8, v6
	v_and_b32_e32 v2, 15, v2
	v_add_co_u32_e32 v0, vcc, s0, v0
	v_lshrrev_b16_e32 v3, 4, v1
	v_addc_co_u32_e32 v1, vcc, 0, v8, vcc
	v_and_b32_e32 v2, 0xffff, v2
	v_and_b32_e32 v9, 15, v6
	v_bfe_u32 v10, v6, 8, 4
	v_bfe_u32 v11, v6, 16, 4
	;; [unrolled: 1-line block ×4, first 2 shown]
	v_and_b32_e32 v6, 15, v3
	v_add_co_u32_e32 v2, vcc, s0, v2
	v_addc_co_u32_e32 v3, vcc, 0, v8, vcc
	v_and_b32_e32 v6, 0xffff, v6
	global_load_sbyte v14, v9, s[0:1]
	global_load_sbyte v15, v[2:3], off
	global_load_sbyte v16, v10, s[0:1]
	v_add_co_u32_e32 v2, vcc, s0, v6
	v_addc_co_u32_e32 v3, vcc, 0, v8, vcc
	global_load_sbyte v6, v[2:3], off
	global_load_sbyte v8, v11, s[0:1]
	global_load_sbyte v9, v12, s[0:1]
	global_load_sbyte v10, v13, s[0:1]
	global_load_sbyte v17, v[0:1], off
	v_lshlrev_b32_e32 v0, 6, v4
	v_mov_b32_e32 v3, s3
	v_add_co_u32_e32 v0, vcc, s2, v0
	v_lshlrev_b32_e32 v1, 1, v5
	v_addc_co_u32_e32 v3, vcc, 0, v3, vcc
	v_add_co_u32_e32 v0, vcc, v0, v1
	v_addc_co_u32_e32 v1, vcc, 0, v3, vcc
	s_waitcnt vmcnt(8)
	v_lshlrev_b32_e32 v3, 23, v7
	v_cmp_ne_u32_e32 vcc, 0, v7
	v_mov_b32_e32 v2, 0x400000
	v_cndmask_b32_e32 v3, v2, v3, vcc
	s_mov_b32 s0, 0.5
	s_waitcnt vmcnt(7)
	v_cvt_f32_i32_e32 v4, v14
	s_waitcnt vmcnt(6)
	v_cvt_f32_i32_e32 v5, v15
	;; [unrolled: 2-line block ×8, first 2 shown]
	v_mul_f32_e32 v2, v3, v4
	v_mul_f32_e32 v4, v3, v5
	;; [unrolled: 1-line block ×4, first 2 shown]
	v_fma_mixlo_f16 v2, v2, s0, 0
	v_mul_f32_e32 v6, v3, v6
	v_mul_f32_e32 v8, v3, v9
	;; [unrolled: 1-line block ×4, first 2 shown]
	v_fma_mixlo_f16 v3, v7, s0, 0
	v_fma_mixlo_f16 v4, v4, s0, 0
	v_fma_mixhi_f16 v2, v5, s0, 0
	v_fma_mixlo_f16 v5, v8, s0, 0
	v_fma_mixhi_f16 v3, v9, s0, 0
	v_fma_mixhi_f16 v4, v6, s0, 0
	;; [unrolled: 1-line block ×3, first 2 shown]
	global_store_dwordx2 v[0:1], v[2:3], off
	global_store_dwordx2 v[0:1], v[4:5], off offset:32
	s_endpgm
	.section	.rodata,"a",@progbits
	.p2align	6, 0x0
	.amdhsa_kernel _ZL22dequantize_block_mxfp4I6__halfEvPKvPT_
		.amdhsa_group_segment_fixed_size 0
		.amdhsa_private_segment_fixed_size 0
		.amdhsa_kernarg_size 16
		.amdhsa_user_sgpr_count 6
		.amdhsa_user_sgpr_private_segment_buffer 1
		.amdhsa_user_sgpr_dispatch_ptr 0
		.amdhsa_user_sgpr_queue_ptr 0
		.amdhsa_user_sgpr_kernarg_segment_ptr 1
		.amdhsa_user_sgpr_dispatch_id 0
		.amdhsa_user_sgpr_flat_scratch_init 0
		.amdhsa_user_sgpr_kernarg_preload_length 0
		.amdhsa_user_sgpr_kernarg_preload_offset 0
		.amdhsa_user_sgpr_private_segment_size 0
		.amdhsa_uses_dynamic_stack 0
		.amdhsa_system_sgpr_private_segment_wavefront_offset 0
		.amdhsa_system_sgpr_workgroup_id_x 1
		.amdhsa_system_sgpr_workgroup_id_y 0
		.amdhsa_system_sgpr_workgroup_id_z 0
		.amdhsa_system_sgpr_workgroup_info 0
		.amdhsa_system_vgpr_workitem_id 0
		.amdhsa_next_free_vgpr 18
		.amdhsa_next_free_sgpr 8
		.amdhsa_accum_offset 20
		.amdhsa_reserve_vcc 1
		.amdhsa_reserve_flat_scratch 0
		.amdhsa_float_round_mode_32 0
		.amdhsa_float_round_mode_16_64 0
		.amdhsa_float_denorm_mode_32 3
		.amdhsa_float_denorm_mode_16_64 3
		.amdhsa_dx10_clamp 1
		.amdhsa_ieee_mode 1
		.amdhsa_fp16_overflow 0
		.amdhsa_tg_split 0
		.amdhsa_exception_fp_ieee_invalid_op 0
		.amdhsa_exception_fp_denorm_src 0
		.amdhsa_exception_fp_ieee_div_zero 0
		.amdhsa_exception_fp_ieee_overflow 0
		.amdhsa_exception_fp_ieee_underflow 0
		.amdhsa_exception_fp_ieee_inexact 0
		.amdhsa_exception_int_div_zero 0
	.end_amdhsa_kernel
	.section	.text._ZL22dequantize_block_mxfp4I6__halfEvPKvPT_,"axG",@progbits,_ZL22dequantize_block_mxfp4I6__halfEvPKvPT_,comdat
.Lfunc_end18:
	.size	_ZL22dequantize_block_mxfp4I6__halfEvPKvPT_, .Lfunc_end18-_ZL22dequantize_block_mxfp4I6__halfEvPKvPT_
                                        ; -- End function
	.section	.AMDGPU.csdata,"",@progbits
; Kernel info:
; codeLenInByte = 536
; NumSgprs: 12
; NumVgprs: 18
; NumAgprs: 0
; TotalNumVgprs: 18
; ScratchSize: 0
; MemoryBound: 0
; FloatMode: 240
; IeeeMode: 1
; LDSByteSize: 0 bytes/workgroup (compile time only)
; SGPRBlocks: 1
; VGPRBlocks: 2
; NumSGPRsForWavesPerEU: 12
; NumVGPRsForWavesPerEU: 18
; AccumOffset: 20
; Occupancy: 8
; WaveLimiterHint : 0
; COMPUTE_PGM_RSRC2:SCRATCH_EN: 0
; COMPUTE_PGM_RSRC2:USER_SGPR: 6
; COMPUTE_PGM_RSRC2:TRAP_HANDLER: 0
; COMPUTE_PGM_RSRC2:TGID_X_EN: 1
; COMPUTE_PGM_RSRC2:TGID_Y_EN: 0
; COMPUTE_PGM_RSRC2:TGID_Z_EN: 0
; COMPUTE_PGM_RSRC2:TIDIG_COMP_CNT: 0
; COMPUTE_PGM_RSRC3_GFX90A:ACCUM_OFFSET: 4
; COMPUTE_PGM_RSRC3_GFX90A:TG_SPLIT: 0
	.section	.text._ZL22dequantize_block_nvfp4I6__halfEvPKvPT_l,"axG",@progbits,_ZL22dequantize_block_nvfp4I6__halfEvPKvPT_l,comdat
	.globl	_ZL22dequantize_block_nvfp4I6__halfEvPKvPT_l ; -- Begin function _ZL22dequantize_block_nvfp4I6__halfEvPKvPT_l
	.p2align	8
	.type	_ZL22dequantize_block_nvfp4I6__halfEvPKvPT_l,@function
_ZL22dequantize_block_nvfp4I6__halfEvPKvPT_l: ; @_ZL22dequantize_block_nvfp4I6__halfEvPKvPT_l
; %bb.0:
	s_load_dwordx2 s[2:3], s[4:5], 0x10
	s_mov_b32 s7, 0
	s_lshl_b64 s[0:1], s[6:7], 6
	s_waitcnt lgkmcnt(0)
	v_pk_mov_b32 v[2:3], s[2:3], s[2:3] op_sel:[0,1]
	v_cmp_ge_i64_e32 vcc, s[0:1], v[2:3]
	s_cbranch_vccnz .LBB19_8
; %bb.1:
	s_load_dwordx2 s[2:3], s[4:5], 0x0
	s_mul_hi_u32 s7, s6, 36
	s_mul_i32 s6, s6, 36
	v_lshrrev_b32_e32 v1, 3, v0
	s_mov_b64 s[8:9], 0
	s_waitcnt lgkmcnt(0)
	s_add_u32 s6, s2, s6
	s_addc_u32 s7, s3, s7
	global_load_ubyte v3, v1, s[6:7]
	s_movk_i32 s2, 0x7e
                                        ; implicit-def: $sgpr12
	s_waitcnt vmcnt(0)
	v_cmp_lt_i16_e32 vcc, s2, v3
	s_and_saveexec_b64 s[2:3], vcc
	s_xor_b64 s[2:3], exec, s[2:3]
; %bb.2:
	s_movk_i32 s8, 0x7f
	v_cmp_ne_u16_e32 vcc, s8, v3
	s_mov_b32 s12, 0
	s_and_b64 s[8:9], vcc, exec
; %bb.3:
	s_or_saveexec_b64 s[10:11], s[2:3]
	s_load_dwordx2 s[2:3], s[4:5], 0x8
	v_mov_b32_e32 v2, s12
	s_xor_b64 exec, exec, s[10:11]
; %bb.4:
	v_cmp_ne_u16_e32 vcc, 0, v3
	s_andn2_b64 s[4:5], s[8:9], exec
	s_and_b64 s[8:9], vcc, exec
	v_mov_b32_e32 v2, 0
	s_or_b64 s[8:9], s[4:5], s[8:9]
; %bb.5:
	s_or_b64 exec, exec, s[10:11]
	s_and_saveexec_b64 s[4:5], s[8:9]
	s_cbranch_execz .LBB19_7
; %bb.6:
	v_and_b32_e32 v2, 0xffff, v3
	v_bfe_u32 v3, v2, 3, 4
	v_and_b32_e32 v2, 7, v2
	v_cvt_f32_ubyte0_e32 v2, v2
	s_mov_b32 s8, 0x3e000000
	v_fma_f32 v4, v2, s8, 1.0
	v_add_u32_e32 v5, -7, v3
	v_cmp_eq_u32_e32 vcc, 0, v3
	v_cndmask_b32_e32 v2, v4, v2, vcc
	v_cndmask_b32_e64 v3, v5, -9, vcc
	v_ldexp_f32 v2, v2, v3
	v_mul_f32_e32 v2, 0.5, v2
.LBB19_7:
	s_or_b64 exec, exec, s[4:5]
	global_load_ubyte v3, v0, s[6:7] offset:4
	s_getpc_b64 s[4:5]
	s_add_u32 s4, s4, _ZL13kvalues_mxfp4@rel32@lo+4
	s_addc_u32 s5, s5, _ZL13kvalues_mxfp4@rel32@hi+12
	v_lshlrev_b32_e32 v1, 4, v1
	v_add_co_u32_e32 v7, vcc, s0, v1
	v_and_or_b32 v0, v0, 7, v7
	s_waitcnt vmcnt(0)
	v_and_b32_e32 v4, 15, v3
	v_lshrrev_b32_e32 v3, 4, v3
	global_load_sbyte v5, v4, s[4:5]
	global_load_sbyte v6, v3, s[4:5]
	v_mov_b32_e32 v3, s1
	v_addc_co_u32_e32 v1, vcc, 0, v3, vcc
	v_lshlrev_b64 v[0:1], 1, v[0:1]
	s_waitcnt lgkmcnt(0)
	v_mov_b32_e32 v4, s3
	v_add_co_u32_e32 v0, vcc, s2, v0
	v_addc_co_u32_e32 v1, vcc, v4, v1, vcc
	s_waitcnt vmcnt(1)
	v_cvt_f32_i32_e32 v3, v5
	s_waitcnt vmcnt(0)
	v_cvt_f32_i32_e32 v5, v6
	v_fma_mixlo_f16 v3, v2, v3, 0
	v_fma_mixlo_f16 v2, v2, v5, 0
	global_store_short v[0:1], v3, off
	global_store_short v[0:1], v2, off offset:16
.LBB19_8:
	s_endpgm
	.section	.rodata,"a",@progbits
	.p2align	6, 0x0
	.amdhsa_kernel _ZL22dequantize_block_nvfp4I6__halfEvPKvPT_l
		.amdhsa_group_segment_fixed_size 0
		.amdhsa_private_segment_fixed_size 0
		.amdhsa_kernarg_size 24
		.amdhsa_user_sgpr_count 6
		.amdhsa_user_sgpr_private_segment_buffer 1
		.amdhsa_user_sgpr_dispatch_ptr 0
		.amdhsa_user_sgpr_queue_ptr 0
		.amdhsa_user_sgpr_kernarg_segment_ptr 1
		.amdhsa_user_sgpr_dispatch_id 0
		.amdhsa_user_sgpr_flat_scratch_init 0
		.amdhsa_user_sgpr_kernarg_preload_length 0
		.amdhsa_user_sgpr_kernarg_preload_offset 0
		.amdhsa_user_sgpr_private_segment_size 0
		.amdhsa_uses_dynamic_stack 0
		.amdhsa_system_sgpr_private_segment_wavefront_offset 0
		.amdhsa_system_sgpr_workgroup_id_x 1
		.amdhsa_system_sgpr_workgroup_id_y 0
		.amdhsa_system_sgpr_workgroup_id_z 0
		.amdhsa_system_sgpr_workgroup_info 0
		.amdhsa_system_vgpr_workitem_id 0
		.amdhsa_next_free_vgpr 8
		.amdhsa_next_free_sgpr 13
		.amdhsa_accum_offset 8
		.amdhsa_reserve_vcc 1
		.amdhsa_reserve_flat_scratch 0
		.amdhsa_float_round_mode_32 0
		.amdhsa_float_round_mode_16_64 0
		.amdhsa_float_denorm_mode_32 3
		.amdhsa_float_denorm_mode_16_64 3
		.amdhsa_dx10_clamp 1
		.amdhsa_ieee_mode 1
		.amdhsa_fp16_overflow 0
		.amdhsa_tg_split 0
		.amdhsa_exception_fp_ieee_invalid_op 0
		.amdhsa_exception_fp_denorm_src 0
		.amdhsa_exception_fp_ieee_div_zero 0
		.amdhsa_exception_fp_ieee_overflow 0
		.amdhsa_exception_fp_ieee_underflow 0
		.amdhsa_exception_fp_ieee_inexact 0
		.amdhsa_exception_int_div_zero 0
	.end_amdhsa_kernel
	.section	.text._ZL22dequantize_block_nvfp4I6__halfEvPKvPT_l,"axG",@progbits,_ZL22dequantize_block_nvfp4I6__halfEvPKvPT_l,comdat
.Lfunc_end19:
	.size	_ZL22dequantize_block_nvfp4I6__halfEvPKvPT_l, .Lfunc_end19-_ZL22dequantize_block_nvfp4I6__halfEvPKvPT_l
                                        ; -- End function
	.section	.AMDGPU.csdata,"",@progbits
; Kernel info:
; codeLenInByte = 400
; NumSgprs: 17
; NumVgprs: 8
; NumAgprs: 0
; TotalNumVgprs: 8
; ScratchSize: 0
; MemoryBound: 0
; FloatMode: 240
; IeeeMode: 1
; LDSByteSize: 0 bytes/workgroup (compile time only)
; SGPRBlocks: 2
; VGPRBlocks: 0
; NumSGPRsForWavesPerEU: 17
; NumVGPRsForWavesPerEU: 8
; AccumOffset: 8
; Occupancy: 8
; WaveLimiterHint : 0
; COMPUTE_PGM_RSRC2:SCRATCH_EN: 0
; COMPUTE_PGM_RSRC2:USER_SGPR: 6
; COMPUTE_PGM_RSRC2:TRAP_HANDLER: 0
; COMPUTE_PGM_RSRC2:TGID_X_EN: 1
; COMPUTE_PGM_RSRC2:TGID_Y_EN: 0
; COMPUTE_PGM_RSRC2:TGID_Z_EN: 0
; COMPUTE_PGM_RSRC2:TIDIG_COMP_CNT: 0
; COMPUTE_PGM_RSRC3_GFX90A:ACCUM_OFFSET: 1
; COMPUTE_PGM_RSRC3_GFX90A:TG_SPLIT: 0
	.section	.text._ZL21dequantize_block_q4_0IfEvPKvPT_i,"axG",@progbits,_ZL21dequantize_block_q4_0IfEvPKvPT_i,comdat
	.globl	_ZL21dequantize_block_q4_0IfEvPKvPT_i ; -- Begin function _ZL21dequantize_block_q4_0IfEvPKvPT_i
	.p2align	8
	.type	_ZL21dequantize_block_q4_0IfEvPKvPT_i,@function
_ZL21dequantize_block_q4_0IfEvPKvPT_i:  ; @_ZL21dequantize_block_q4_0IfEvPKvPT_i
; %bb.0:
	s_load_dword s0, s[4:5], 0x10
	s_mov_b32 s7, 0
	v_and_b32_e32 v2, 7, v0
	s_lshl_b64 s[2:3], s[6:7], 3
	v_mov_b32_e32 v5, s3
	s_waitcnt lgkmcnt(0)
	s_ashr_i32 s1, s0, 31
	v_or_b32_e32 v4, s2, v2
	v_cmp_gt_i64_e32 vcc, s[0:1], v[4:5]
	s_and_saveexec_b64 s[0:1], vcc
	s_cbranch_execz .LBB20_2
; %bb.1:
	s_load_dwordx4 s[0:3], s[4:5], 0x0
	v_lshrrev_b32_e32 v0, 1, v0
	v_and_b32_e32 v3, 0x1fc, v0
	s_waitcnt lgkmcnt(0)
	v_mad_u64_u32 v[0:1], s[0:1], v4, 18, s[0:1]
	v_mad_u32_u24 v1, v5, 18, v1
	v_add_co_u32_e32 v4, vcc, v0, v3
	v_addc_co_u32_e32 v5, vcc, 0, v1, vcc
	global_load_ushort v7, v[0:1], off
	global_load_dword v6, v[4:5], off offset:2
	s_lshl_b64 s[0:1], s[6:7], 10
	s_add_u32 s0, s2, s0
	v_lshlrev_b32_e32 v0, 7, v2
	s_addc_u32 s1, s3, s1
	v_lshlrev_b32_e32 v2, 2, v3
	v_mov_b32_e32 v3, s1
	v_add_co_u32_e32 v0, vcc, s0, v0
	v_addc_co_u32_e32 v3, vcc, 0, v3, vcc
	v_add_co_u32_e32 v8, vcc, v0, v2
	v_mov_b32_e32 v1, 4
	v_addc_co_u32_e32 v9, vcc, 0, v3, vcc
	s_waitcnt vmcnt(1)
	v_cvt_f32_f16_e32 v0, v7
	s_waitcnt vmcnt(0)
	v_lshrrev_b32_e32 v2, 8, v6
	v_lshrrev_b16_e32 v4, 4, v6
	v_lshrrev_b16_e32 v2, 4, v2
	v_and_b32_e32 v3, 15, v6
	v_bfe_u32 v5, v6, 8, 4
	v_bfe_u32 v10, v6, 16, 4
	;; [unrolled: 1-line block ×4, first 2 shown]
	v_lshrrev_b16_sdwa v1, v1, v6 dst_sel:DWORD dst_unused:UNUSED_PAD src0_sel:DWORD src1_sel:BYTE_3
	v_and_b32_e32 v4, 15, v4
	v_and_b32_e32 v2, 15, v2
	v_cvt_f32_ubyte0_e32 v3, v3
	v_cvt_f32_ubyte0_e32 v5, v5
	;; [unrolled: 1-line block ×7, first 2 shown]
	v_mul_f32_e32 v13, 0xc1000000, v0
	v_cvt_f32_ubyte0_e32 v2, v2
	v_fma_mix_f32 v0, v7, v3, v13 op_sel_hi:[1,0,0]
	v_fma_mix_f32 v4, v7, v1, v13 op_sel_hi:[1,0,0]
	;; [unrolled: 1-line block ×8, first 2 shown]
	global_store_dwordx4 v[8:9], v[0:3], off
	global_store_dwordx4 v[8:9], v[4:7], off offset:64
.LBB20_2:
	s_endpgm
	.section	.rodata,"a",@progbits
	.p2align	6, 0x0
	.amdhsa_kernel _ZL21dequantize_block_q4_0IfEvPKvPT_i
		.amdhsa_group_segment_fixed_size 0
		.amdhsa_private_segment_fixed_size 0
		.amdhsa_kernarg_size 20
		.amdhsa_user_sgpr_count 6
		.amdhsa_user_sgpr_private_segment_buffer 1
		.amdhsa_user_sgpr_dispatch_ptr 0
		.amdhsa_user_sgpr_queue_ptr 0
		.amdhsa_user_sgpr_kernarg_segment_ptr 1
		.amdhsa_user_sgpr_dispatch_id 0
		.amdhsa_user_sgpr_flat_scratch_init 0
		.amdhsa_user_sgpr_kernarg_preload_length 0
		.amdhsa_user_sgpr_kernarg_preload_offset 0
		.amdhsa_user_sgpr_private_segment_size 0
		.amdhsa_uses_dynamic_stack 0
		.amdhsa_system_sgpr_private_segment_wavefront_offset 0
		.amdhsa_system_sgpr_workgroup_id_x 1
		.amdhsa_system_sgpr_workgroup_id_y 0
		.amdhsa_system_sgpr_workgroup_id_z 0
		.amdhsa_system_sgpr_workgroup_info 0
		.amdhsa_system_vgpr_workitem_id 0
		.amdhsa_next_free_vgpr 14
		.amdhsa_next_free_sgpr 8
		.amdhsa_accum_offset 16
		.amdhsa_reserve_vcc 1
		.amdhsa_reserve_flat_scratch 0
		.amdhsa_float_round_mode_32 0
		.amdhsa_float_round_mode_16_64 0
		.amdhsa_float_denorm_mode_32 3
		.amdhsa_float_denorm_mode_16_64 3
		.amdhsa_dx10_clamp 1
		.amdhsa_ieee_mode 1
		.amdhsa_fp16_overflow 0
		.amdhsa_tg_split 0
		.amdhsa_exception_fp_ieee_invalid_op 0
		.amdhsa_exception_fp_denorm_src 0
		.amdhsa_exception_fp_ieee_div_zero 0
		.amdhsa_exception_fp_ieee_overflow 0
		.amdhsa_exception_fp_ieee_underflow 0
		.amdhsa_exception_fp_ieee_inexact 0
		.amdhsa_exception_int_div_zero 0
	.end_amdhsa_kernel
	.section	.text._ZL21dequantize_block_q4_0IfEvPKvPT_i,"axG",@progbits,_ZL21dequantize_block_q4_0IfEvPKvPT_i,comdat
.Lfunc_end20:
	.size	_ZL21dequantize_block_q4_0IfEvPKvPT_i, .Lfunc_end20-_ZL21dequantize_block_q4_0IfEvPKvPT_i
                                        ; -- End function
	.section	.AMDGPU.csdata,"",@progbits
; Kernel info:
; codeLenInByte = 356
; NumSgprs: 12
; NumVgprs: 14
; NumAgprs: 0
; TotalNumVgprs: 14
; ScratchSize: 0
; MemoryBound: 0
; FloatMode: 240
; IeeeMode: 1
; LDSByteSize: 0 bytes/workgroup (compile time only)
; SGPRBlocks: 1
; VGPRBlocks: 1
; NumSGPRsForWavesPerEU: 12
; NumVGPRsForWavesPerEU: 14
; AccumOffset: 16
; Occupancy: 8
; WaveLimiterHint : 0
; COMPUTE_PGM_RSRC2:SCRATCH_EN: 0
; COMPUTE_PGM_RSRC2:USER_SGPR: 6
; COMPUTE_PGM_RSRC2:TRAP_HANDLER: 0
; COMPUTE_PGM_RSRC2:TGID_X_EN: 1
; COMPUTE_PGM_RSRC2:TGID_Y_EN: 0
; COMPUTE_PGM_RSRC2:TGID_Z_EN: 0
; COMPUTE_PGM_RSRC2:TIDIG_COMP_CNT: 0
; COMPUTE_PGM_RSRC3_GFX90A:ACCUM_OFFSET: 3
; COMPUTE_PGM_RSRC3_GFX90A:TG_SPLIT: 0
	.section	.text._ZL21dequantize_block_q4_1IfEvPKvPT_i,"axG",@progbits,_ZL21dequantize_block_q4_1IfEvPKvPT_i,comdat
	.globl	_ZL21dequantize_block_q4_1IfEvPKvPT_i ; -- Begin function _ZL21dequantize_block_q4_1IfEvPKvPT_i
	.p2align	8
	.type	_ZL21dequantize_block_q4_1IfEvPKvPT_i,@function
_ZL21dequantize_block_q4_1IfEvPKvPT_i:  ; @_ZL21dequantize_block_q4_1IfEvPKvPT_i
; %bb.0:
	s_load_dword s0, s[4:5], 0x10
	s_mov_b32 s7, 0
	v_and_b32_e32 v2, 7, v0
	s_lshl_b64 s[2:3], s[6:7], 3
	v_mov_b32_e32 v5, s3
	s_waitcnt lgkmcnt(0)
	s_ashr_i32 s1, s0, 31
	v_or_b32_e32 v4, s2, v2
	v_cmp_gt_i64_e32 vcc, s[0:1], v[4:5]
	s_and_saveexec_b64 s[0:1], vcc
	s_cbranch_execz .LBB21_2
; %bb.1:
	s_load_dwordx4 s[0:3], s[4:5], 0x0
	v_lshrrev_b32_e32 v0, 1, v0
	v_and_b32_e32 v3, 0x1fc, v0
	s_waitcnt lgkmcnt(0)
	v_mad_u64_u32 v[0:1], s[0:1], v4, 20, s[0:1]
	v_mad_u32_u24 v1, v5, 20, v1
	v_add_co_u32_e32 v4, vcc, v0, v3
	v_addc_co_u32_e32 v5, vcc, 0, v1, vcc
	global_load_dword v6, v[4:5], off offset:4
	global_load_dword v7, v[0:1], off
	s_lshl_b64 s[0:1], s[6:7], 10
	s_add_u32 s0, s2, s0
	v_lshlrev_b32_e32 v0, 7, v2
	s_addc_u32 s1, s3, s1
	v_lshlrev_b32_e32 v2, 2, v3
	v_mov_b32_e32 v3, s1
	v_add_co_u32_e32 v0, vcc, s0, v0
	v_addc_co_u32_e32 v3, vcc, 0, v3, vcc
	v_mov_b32_e32 v1, 4
	v_add_co_u32_e32 v8, vcc, v0, v2
	v_addc_co_u32_e32 v9, vcc, 0, v3, vcc
	s_waitcnt vmcnt(1)
	v_lshrrev_b32_e32 v0, 8, v6
	v_and_b32_e32 v2, 15, v6
	v_lshrrev_b16_e32 v3, 4, v6
	v_bfe_u32 v4, v6, 8, 4
	v_bfe_u32 v5, v6, 16, 4
	;; [unrolled: 1-line block ×4, first 2 shown]
	v_lshrrev_b16_sdwa v1, v1, v6 dst_sel:DWORD dst_unused:UNUSED_PAD src0_sel:DWORD src1_sel:BYTE_3
	v_lshrrev_b16_e32 v6, 4, v0
	v_cvt_f32_ubyte0_e32 v2, v2
	v_and_b32_e32 v3, 15, v3
	v_cvt_f32_ubyte0_e32 v5, v5
	v_and_b32_e32 v14, 15, v6
	v_cvt_f32_ubyte0_e32 v4, v4
	v_cvt_f32_ubyte0_e32 v10, v10
	;; [unrolled: 1-line block ×4, first 2 shown]
	s_waitcnt vmcnt(0)
	v_fma_mix_f32 v0, v7, v2, v7 op_sel:[0,0,1] op_sel_hi:[1,0,1]
	v_cvt_f32_ubyte0_e32 v13, v3
	v_fma_mix_f32 v2, v7, v5, v7 op_sel:[0,0,1] op_sel_hi:[1,0,1]
	v_cvt_f32_ubyte0_e32 v5, v14
	v_fma_mix_f32 v1, v7, v4, v7 op_sel:[0,0,1] op_sel_hi:[1,0,1]
	v_fma_mix_f32 v6, v7, v10, v7 op_sel:[0,0,1] op_sel_hi:[1,0,1]
	;; [unrolled: 1-line block ×6, first 2 shown]
	global_store_dwordx4 v[8:9], v[0:3], off
	global_store_dwordx4 v[8:9], v[4:7], off offset:64
.LBB21_2:
	s_endpgm
	.section	.rodata,"a",@progbits
	.p2align	6, 0x0
	.amdhsa_kernel _ZL21dequantize_block_q4_1IfEvPKvPT_i
		.amdhsa_group_segment_fixed_size 0
		.amdhsa_private_segment_fixed_size 0
		.amdhsa_kernarg_size 20
		.amdhsa_user_sgpr_count 6
		.amdhsa_user_sgpr_private_segment_buffer 1
		.amdhsa_user_sgpr_dispatch_ptr 0
		.amdhsa_user_sgpr_queue_ptr 0
		.amdhsa_user_sgpr_kernarg_segment_ptr 1
		.amdhsa_user_sgpr_dispatch_id 0
		.amdhsa_user_sgpr_flat_scratch_init 0
		.amdhsa_user_sgpr_kernarg_preload_length 0
		.amdhsa_user_sgpr_kernarg_preload_offset 0
		.amdhsa_user_sgpr_private_segment_size 0
		.amdhsa_uses_dynamic_stack 0
		.amdhsa_system_sgpr_private_segment_wavefront_offset 0
		.amdhsa_system_sgpr_workgroup_id_x 1
		.amdhsa_system_sgpr_workgroup_id_y 0
		.amdhsa_system_sgpr_workgroup_id_z 0
		.amdhsa_system_sgpr_workgroup_info 0
		.amdhsa_system_vgpr_workitem_id 0
		.amdhsa_next_free_vgpr 15
		.amdhsa_next_free_sgpr 8
		.amdhsa_accum_offset 16
		.amdhsa_reserve_vcc 1
		.amdhsa_reserve_flat_scratch 0
		.amdhsa_float_round_mode_32 0
		.amdhsa_float_round_mode_16_64 0
		.amdhsa_float_denorm_mode_32 3
		.amdhsa_float_denorm_mode_16_64 3
		.amdhsa_dx10_clamp 1
		.amdhsa_ieee_mode 1
		.amdhsa_fp16_overflow 0
		.amdhsa_tg_split 0
		.amdhsa_exception_fp_ieee_invalid_op 0
		.amdhsa_exception_fp_denorm_src 0
		.amdhsa_exception_fp_ieee_div_zero 0
		.amdhsa_exception_fp_ieee_overflow 0
		.amdhsa_exception_fp_ieee_underflow 0
		.amdhsa_exception_fp_ieee_inexact 0
		.amdhsa_exception_int_div_zero 0
	.end_amdhsa_kernel
	.section	.text._ZL21dequantize_block_q4_1IfEvPKvPT_i,"axG",@progbits,_ZL21dequantize_block_q4_1IfEvPKvPT_i,comdat
.Lfunc_end21:
	.size	_ZL21dequantize_block_q4_1IfEvPKvPT_i, .Lfunc_end21-_ZL21dequantize_block_q4_1IfEvPKvPT_i
                                        ; -- End function
	.section	.AMDGPU.csdata,"",@progbits
; Kernel info:
; codeLenInByte = 344
; NumSgprs: 12
; NumVgprs: 15
; NumAgprs: 0
; TotalNumVgprs: 15
; ScratchSize: 0
; MemoryBound: 0
; FloatMode: 240
; IeeeMode: 1
; LDSByteSize: 0 bytes/workgroup (compile time only)
; SGPRBlocks: 1
; VGPRBlocks: 1
; NumSGPRsForWavesPerEU: 12
; NumVGPRsForWavesPerEU: 15
; AccumOffset: 16
; Occupancy: 8
; WaveLimiterHint : 0
; COMPUTE_PGM_RSRC2:SCRATCH_EN: 0
; COMPUTE_PGM_RSRC2:USER_SGPR: 6
; COMPUTE_PGM_RSRC2:TRAP_HANDLER: 0
; COMPUTE_PGM_RSRC2:TGID_X_EN: 1
; COMPUTE_PGM_RSRC2:TGID_Y_EN: 0
; COMPUTE_PGM_RSRC2:TGID_Z_EN: 0
; COMPUTE_PGM_RSRC2:TIDIG_COMP_CNT: 0
; COMPUTE_PGM_RSRC3_GFX90A:ACCUM_OFFSET: 3
; COMPUTE_PGM_RSRC3_GFX90A:TG_SPLIT: 0
	.section	.text._ZL21dequantize_block_q2_KIfEvPKvPT_,"axG",@progbits,_ZL21dequantize_block_q2_KIfEvPKvPT_,comdat
	.globl	_ZL21dequantize_block_q2_KIfEvPKvPT_ ; -- Begin function _ZL21dequantize_block_q2_KIfEvPKvPT_
	.p2align	8
	.type	_ZL21dequantize_block_q2_KIfEvPKvPT_,@function
_ZL21dequantize_block_q2_KIfEvPKvPT_:   ; @_ZL21dequantize_block_q2_KIfEvPKvPT_
; %bb.0:
	s_load_dwordx4 s[0:3], s[4:5], 0x0
	s_mul_i32 s5, s6, 0x54
	v_lshrrev_b32_e32 v1, 5, v0
	v_bfe_u32 v2, v0, 4, 1
	s_mul_hi_u32 s4, s6, 0x54
	s_waitcnt lgkmcnt(0)
	s_add_u32 s0, s0, s5
	v_lshl_or_b32 v2, v1, 3, v2
	s_addc_u32 s1, s1, s4
	global_load_ubyte v3, v2, s[0:1]
	global_load_ubyte v4, v0, s[0:1] offset:16
	global_load_ubyte v5, v2, s[0:1] offset:2
	;; [unrolled: 1-line block ×4, first 2 shown]
	s_mov_b32 s7, 0
	s_load_dword s4, s[0:1], 0x50
	s_lshl_b64 s[0:1], s[6:7], 10
	s_add_u32 s0, s2, s0
	v_lshlrev_b32_e32 v1, 9, v1
	s_addc_u32 s1, s3, s1
	v_and_b32_e32 v0, 31, v0
	v_mov_b32_e32 v2, s1
	v_add_co_u32_e32 v1, vcc, s0, v1
	v_lshlrev_b32_e32 v0, 2, v0
	v_addc_co_u32_e32 v2, vcc, 0, v2, vcc
	v_add_co_u32_e32 v0, vcc, v1, v0
	s_waitcnt lgkmcnt(0)
	s_lshr_b32 s0, s4, 16
	v_addc_co_u32_e32 v1, vcc, 0, v2, vcc
	v_cvt_f32_f16_e32 v2, s4
	v_cvt_f32_f16_e32 v8, s0
	s_waitcnt vmcnt(4)
	v_and_b32_e32 v9, 15, v3
	v_lshrrev_b32_e32 v3, 4, v3
	s_waitcnt vmcnt(3)
	v_and_b32_e32 v10, 3, v4
	s_waitcnt vmcnt(2)
	v_and_b32_e32 v11, 15, v5
	v_lshrrev_b32_e32 v5, 4, v5
	s_waitcnt vmcnt(1)
	v_and_b32_e32 v13, 15, v6
	v_lshrrev_b32_e32 v6, 4, v6
	;; [unrolled: 3-line block ×3, first 2 shown]
	v_cvt_f32_ubyte0_e32 v9, v9
	v_cvt_f32_ubyte0_e32 v3, v3
	v_bfe_u32 v12, v4, 2, 2
	v_bfe_u32 v14, v4, 4, 2
	v_lshrrev_b32_e32 v4, 6, v4
	v_cvt_f32_ubyte0_e32 v10, v10
	v_cvt_f32_ubyte0_e32 v11, v11
	v_cvt_f32_ubyte0_e32 v5, v5
	v_cvt_f32_ubyte0_e32 v13, v13
	v_cvt_f32_ubyte0_e32 v6, v6
	v_cvt_f32_ubyte0_e32 v15, v15
	v_cvt_f32_ubyte0_e32 v7, v7
	v_mul_f32_e32 v9, v2, v9
	v_mul_f32_e32 v3, v8, v3
	v_cvt_f32_ubyte0_e32 v12, v12
	v_cvt_f32_ubyte0_e32 v14, v14
	;; [unrolled: 1-line block ×3, first 2 shown]
	v_mul_f32_e32 v11, v2, v11
	v_mul_f32_e32 v5, v8, v5
	;; [unrolled: 1-line block ×6, first 2 shown]
	v_fma_f32 v3, v9, v10, -v3
	v_fma_f32 v5, v11, v12, -v5
	;; [unrolled: 1-line block ×4, first 2 shown]
	global_store_dword v[0:1], v3, off
	global_store_dword v[0:1], v5, off offset:128
	global_store_dword v[0:1], v6, off offset:256
	;; [unrolled: 1-line block ×3, first 2 shown]
	s_endpgm
	.section	.rodata,"a",@progbits
	.p2align	6, 0x0
	.amdhsa_kernel _ZL21dequantize_block_q2_KIfEvPKvPT_
		.amdhsa_group_segment_fixed_size 0
		.amdhsa_private_segment_fixed_size 0
		.amdhsa_kernarg_size 16
		.amdhsa_user_sgpr_count 6
		.amdhsa_user_sgpr_private_segment_buffer 1
		.amdhsa_user_sgpr_dispatch_ptr 0
		.amdhsa_user_sgpr_queue_ptr 0
		.amdhsa_user_sgpr_kernarg_segment_ptr 1
		.amdhsa_user_sgpr_dispatch_id 0
		.amdhsa_user_sgpr_flat_scratch_init 0
		.amdhsa_user_sgpr_kernarg_preload_length 0
		.amdhsa_user_sgpr_kernarg_preload_offset 0
		.amdhsa_user_sgpr_private_segment_size 0
		.amdhsa_uses_dynamic_stack 0
		.amdhsa_system_sgpr_private_segment_wavefront_offset 0
		.amdhsa_system_sgpr_workgroup_id_x 1
		.amdhsa_system_sgpr_workgroup_id_y 0
		.amdhsa_system_sgpr_workgroup_id_z 0
		.amdhsa_system_sgpr_workgroup_info 0
		.amdhsa_system_vgpr_workitem_id 0
		.amdhsa_next_free_vgpr 16
		.amdhsa_next_free_sgpr 8
		.amdhsa_accum_offset 16
		.amdhsa_reserve_vcc 1
		.amdhsa_reserve_flat_scratch 0
		.amdhsa_float_round_mode_32 0
		.amdhsa_float_round_mode_16_64 0
		.amdhsa_float_denorm_mode_32 3
		.amdhsa_float_denorm_mode_16_64 3
		.amdhsa_dx10_clamp 1
		.amdhsa_ieee_mode 1
		.amdhsa_fp16_overflow 0
		.amdhsa_tg_split 0
		.amdhsa_exception_fp_ieee_invalid_op 0
		.amdhsa_exception_fp_denorm_src 0
		.amdhsa_exception_fp_ieee_div_zero 0
		.amdhsa_exception_fp_ieee_overflow 0
		.amdhsa_exception_fp_ieee_underflow 0
		.amdhsa_exception_fp_ieee_inexact 0
		.amdhsa_exception_int_div_zero 0
	.end_amdhsa_kernel
	.section	.text._ZL21dequantize_block_q2_KIfEvPKvPT_,"axG",@progbits,_ZL21dequantize_block_q2_KIfEvPKvPT_,comdat
.Lfunc_end22:
	.size	_ZL21dequantize_block_q2_KIfEvPKvPT_, .Lfunc_end22-_ZL21dequantize_block_q2_KIfEvPKvPT_
                                        ; -- End function
	.section	.AMDGPU.csdata,"",@progbits
; Kernel info:
; codeLenInByte = 392
; NumSgprs: 12
; NumVgprs: 16
; NumAgprs: 0
; TotalNumVgprs: 16
; ScratchSize: 0
; MemoryBound: 0
; FloatMode: 240
; IeeeMode: 1
; LDSByteSize: 0 bytes/workgroup (compile time only)
; SGPRBlocks: 1
; VGPRBlocks: 1
; NumSGPRsForWavesPerEU: 12
; NumVGPRsForWavesPerEU: 16
; AccumOffset: 16
; Occupancy: 8
; WaveLimiterHint : 0
; COMPUTE_PGM_RSRC2:SCRATCH_EN: 0
; COMPUTE_PGM_RSRC2:USER_SGPR: 6
; COMPUTE_PGM_RSRC2:TRAP_HANDLER: 0
; COMPUTE_PGM_RSRC2:TGID_X_EN: 1
; COMPUTE_PGM_RSRC2:TGID_Y_EN: 0
; COMPUTE_PGM_RSRC2:TGID_Z_EN: 0
; COMPUTE_PGM_RSRC2:TIDIG_COMP_CNT: 0
; COMPUTE_PGM_RSRC3_GFX90A:ACCUM_OFFSET: 3
; COMPUTE_PGM_RSRC3_GFX90A:TG_SPLIT: 0
	.section	.text._ZL21dequantize_block_q3_KIfEvPKvPT_,"axG",@progbits,_ZL21dequantize_block_q3_KIfEvPKvPT_,comdat
	.globl	_ZL21dequantize_block_q3_KIfEvPKvPT_ ; -- Begin function _ZL21dequantize_block_q3_KIfEvPKvPT_
	.p2align	8
	.type	_ZL21dequantize_block_q3_KIfEvPKvPT_,@function
_ZL21dequantize_block_q3_KIfEvPKvPT_:   ; @_ZL21dequantize_block_q3_KIfEvPKvPT_
; %bb.0:
	v_lshrrev_b32_e32 v1, 5, v0
	v_lshrrev_b32_e32 v4, 3, v0
	v_lshlrev_b32_e32 v3, 2, v1
	v_sub_co_u32_e32 v6, vcc, v4, v3
	s_load_dwordx4 s[0:3], s[4:5], 0x0
	v_lshrrev_b32_e32 v2, 2, v0
	v_subb_co_u32_e64 v7, s[4:5], 0, 0, vcc
	v_and_b32_e32 v5, 0xf8, v2
	v_lshlrev_b64 v[2:3], 1, v[6:7]
	v_add_co_u32_e32 v12, vcc, v2, v5
	v_bfe_u32 v8, v0, 2, 1
	v_addc_co_u32_e32 v13, vcc, 0, v3, vcc
	v_or_b32_e32 v10, v12, v8
	v_mov_b32_e32 v11, v13
	s_mov_b32 s7, 0
	v_cmp_lt_i64_e32 vcc, 3, v[10:11]
	s_mul_hi_u32 s12, s6, 0x6e
	s_mul_i32 s13, s6, 0x6e
                                        ; implicit-def: $vgpr3
                                        ; implicit-def: $vgpr5
	s_and_saveexec_b64 s[4:5], vcc
	s_xor_b64 s[4:5], exec, s[4:5]
	s_cbranch_execz .LBB23_10
; %bb.1:
	v_cmp_lt_u64_e32 vcc, 7, v[12:13]
                                        ; implicit-def: $vgpr3
                                        ; implicit-def: $vgpr5
	s_and_saveexec_b64 s[8:9], vcc
	s_xor_b64 s[8:9], exec, s[8:9]
	s_cbranch_execz .LBB23_7
; %bb.2:
	s_waitcnt lgkmcnt(0)
	s_add_u32 s10, s0, s13
	s_addc_u32 s11, s1, s12
	s_add_u32 s10, s10, 0x60
	s_addc_u32 s11, s11, 0
	v_mov_b32_e32 v3, s11
	v_add_co_u32_e32 v10, vcc, s10, v10
	v_addc_co_u32_e32 v11, vcc, v3, v11, vcc
	global_load_ubyte v3, v[10:11], off offset:-8
	v_cmp_lt_u64_e32 vcc, 11, v[12:13]
                                        ; implicit-def: $vgpr5
	s_waitcnt vmcnt(0)
	v_lshrrev_b16_e32 v3, 4, v3
	s_and_saveexec_b64 s[10:11], vcc
	s_xor_b64 s[10:11], exec, s[10:11]
	s_cbranch_execz .LBB23_4
; %bb.3:
	global_load_ubyte v5, v[10:11], off offset:-4
                                        ; implicit-def: $vgpr10_vgpr11
	s_waitcnt vmcnt(0)
	v_lshrrev_b16_e32 v5, 2, v5
.LBB23_4:
	s_andn2_saveexec_b64 s[10:11], s[10:11]
	s_cbranch_execz .LBB23_6
; %bb.5:
	global_load_ubyte v5, v[10:11], off
.LBB23_6:
	s_or_b64 exec, exec, s[10:11]
                                        ; implicit-def: $vgpr10_vgpr11
.LBB23_7:
	s_andn2_saveexec_b64 s[8:9], s[8:9]
	s_cbranch_execz .LBB23_9
; %bb.8:
	s_waitcnt lgkmcnt(0)
	s_add_u32 s10, s0, s13
	s_addc_u32 s11, s1, s12
	v_mov_b32_e32 v3, s11
	v_add_co_u32_e32 v10, vcc, s10, v10
	v_addc_co_u32_e32 v11, vcc, v3, v11, vcc
	global_load_ubyte v3, v[10:11], off offset:96
	global_load_ubyte v5, v[10:11], off offset:100
	s_waitcnt vmcnt(1)
	v_and_b32_e32 v3, 15, v3
	s_waitcnt vmcnt(0)
	v_lshlrev_b16_e32 v5, 2, v5
.LBB23_9:
	s_or_b64 exec, exec, s[8:9]
                                        ; implicit-def: $vgpr10_vgpr11
.LBB23_10:
	s_andn2_saveexec_b64 s[4:5], s[4:5]
	s_cbranch_execz .LBB23_12
; %bb.11:
	s_waitcnt lgkmcnt(0)
	s_add_u32 s8, s0, s13
	s_addc_u32 s9, s1, s12
	v_mov_b32_e32 v3, s9
	v_add_co_u32_e32 v10, vcc, s8, v10
	v_addc_co_u32_e32 v11, vcc, v3, v11, vcc
	global_load_ubyte v3, v[10:11], off offset:96
	global_load_ubyte v5, v[10:11], off offset:104
	s_waitcnt vmcnt(1)
	v_and_b32_e32 v3, 15, v3
	s_waitcnt vmcnt(0)
	v_lshlrev_b16_e32 v5, 4, v5
.LBB23_12:
	s_or_b64 exec, exec, s[4:5]
	s_waitcnt lgkmcnt(0)
	s_add_u32 s0, s0, s13
	v_lshlrev_b32_e32 v0, 2, v0
	s_addc_u32 s1, s1, s12
	v_lshlrev_b32_e32 v9, 5, v1
	v_and_b32_e32 v0, 12, v0
	v_mov_b32_e32 v11, s1
	v_add_co_u32_e32 v10, vcc, s0, v9
	v_lshl_or_b32 v0, v8, 4, v0
	v_addc_co_u32_e32 v11, vcc, 0, v11, vcc
	v_mov_b32_e32 v8, 0
	v_add_co_u32_e32 v12, vcc, v10, v0
	v_addc_co_u32_e32 v13, vcc, 0, v11, vcc
	global_load_ushort v14, v8, s[0:1] offset:108
	global_load_ubyte v15, v[12:13], off offset:32
	global_load_ubyte v16, v0, s[0:1]
	s_lshl_b64 s[4:5], s[6:7], 10
	s_waitcnt vmcnt(3)
	v_and_b32_e32 v12, 48, v5
	s_add_u32 s2, s2, s4
	v_mov_b32_e32 v13, 32
	v_lshlrev_b32_e32 v1, 9, v1
	v_or_b32_e32 v3, v12, v3
	s_addc_u32 s3, s3, s5
	v_sub_u32_sdwa v3, v3, v13 dst_sel:DWORD dst_unused:UNUSED_PAD src0_sel:BYTE_0 src1_sel:DWORD
	v_mov_b32_e32 v13, s3
	v_add_co_u32_e32 v1, vcc, s2, v1
	v_lshlrev_b32_e64 v9, v4, 1
	v_lshlrev_b64 v[4:5], 7, v[6:7]
	v_addc_co_u32_e32 v13, vcc, 0, v13, vcc
	v_add_co_u32_e32 v1, vcc, v1, v4
	v_addc_co_u32_e32 v5, vcc, v13, v5, vcc
	v_cvt_f32_i32_e32 v3, v3
	v_lshlrev_b32_e32 v7, 2, v0
	v_add_u32_e32 v6, 4, v0
	v_or_b32_e32 v12, 1, v0
	s_waitcnt vmcnt(2)
	v_cvt_f32_f16_e32 v13, v14
	s_waitcnt vmcnt(1)
	v_lshrrev_b32_e32 v4, v2, v15
	s_waitcnt vmcnt(0)
	v_and_b32_e32 v14, v9, v16
	v_cmp_eq_u32_e32 vcc, 0, v14
	v_cndmask_b32_e64 v14, 0, -4, vcc
	v_and_or_b32 v4, v4, 3, v14
	v_cvt_f32_i32_e32 v14, v4
	v_add_co_u32_e32 v4, vcc, v1, v7
	v_addc_co_u32_e32 v5, vcc, 0, v5, vcc
	v_mul_f32_e32 v1, v13, v3
	v_mul_f32_e32 v3, v1, v14
	v_cmp_gt_u32_e32 vcc, v6, v12
	global_store_dword v[4:5], v3, off
	s_and_saveexec_b64 s[2:3], vcc
	s_cbranch_execz .LBB23_14
; %bb.13:
	v_mov_b32_e32 v3, s1
	v_add_co_u32_e32 v6, vcc, s0, v0
	v_addc_co_u32_e32 v7, vcc, 0, v3, vcc
	v_add_co_u32_e32 v3, vcc, 32, v10
	v_addc_co_u32_e32 v12, vcc, 0, v11, vcc
	;; [unrolled: 2-line block ×3, first 2 shown]
	global_load_ubyte v13, v[10:11], off offset:1
	global_load_ubyte v14, v0, s[0:1] offset:1
	v_add_co_u32_e32 v10, vcc, v3, v0
	v_addc_co_u32_e32 v11, vcc, 0, v12, vcc
	global_load_ushort v0, v[10:11], off offset:2
	global_load_ushort v3, v[6:7], off offset:2
	s_waitcnt vmcnt(3)
	v_lshrrev_b32_e32 v7, v2, v13
	s_waitcnt vmcnt(2)
	v_and_b32_e32 v6, v9, v14
	v_cmp_eq_u32_e32 vcc, 0, v6
	v_cndmask_b32_e64 v6, 0, -4, vcc
	s_waitcnt vmcnt(1)
	v_lshrrev_b32_sdwa v10, v2, v0 dst_sel:DWORD dst_unused:UNUSED_PAD src0_sel:DWORD src1_sel:BYTE_0
	s_waitcnt vmcnt(0)
	v_and_b32_e32 v11, v3, v9
	v_lshrrev_b32_sdwa v0, v2, v0 dst_sel:DWORD dst_unused:UNUSED_PAD src0_sel:DWORD src1_sel:BYTE_1
	v_and_b32_sdwa v2, v9, v3 dst_sel:DWORD dst_unused:UNUSED_PAD src0_sel:DWORD src1_sel:BYTE_1
	v_cmp_eq_u32_sdwa s[0:1], v11, v8 src0_sel:BYTE_0 src1_sel:DWORD
	v_cmp_eq_u32_e32 vcc, 0, v2
	v_and_or_b32 v3, v7, 3, v6
	v_cndmask_b32_e64 v6, 0, -4, s[0:1]
	v_cndmask_b32_e64 v2, 0, -4, vcc
	v_cvt_f32_i32_e32 v3, v3
	v_and_or_b32 v6, v10, 3, v6
	v_and_or_b32 v0, v0, 3, v2
	v_cvt_f32_i32_e32 v2, v6
	v_cvt_f32_i32_e32 v6, v0
	v_mul_f32_e32 v0, v1, v3
	global_store_dword v[4:5], v0, off offset:4
	v_mul_f32_e32 v0, v1, v2
	v_mul_f32_e32 v1, v1, v6
	global_store_dwordx2 v[4:5], v[0:1], off offset:8
.LBB23_14:
	s_endpgm
	.section	.rodata,"a",@progbits
	.p2align	6, 0x0
	.amdhsa_kernel _ZL21dequantize_block_q3_KIfEvPKvPT_
		.amdhsa_group_segment_fixed_size 0
		.amdhsa_private_segment_fixed_size 0
		.amdhsa_kernarg_size 16
		.amdhsa_user_sgpr_count 6
		.amdhsa_user_sgpr_private_segment_buffer 1
		.amdhsa_user_sgpr_dispatch_ptr 0
		.amdhsa_user_sgpr_queue_ptr 0
		.amdhsa_user_sgpr_kernarg_segment_ptr 1
		.amdhsa_user_sgpr_dispatch_id 0
		.amdhsa_user_sgpr_flat_scratch_init 0
		.amdhsa_user_sgpr_kernarg_preload_length 0
		.amdhsa_user_sgpr_kernarg_preload_offset 0
		.amdhsa_user_sgpr_private_segment_size 0
		.amdhsa_uses_dynamic_stack 0
		.amdhsa_system_sgpr_private_segment_wavefront_offset 0
		.amdhsa_system_sgpr_workgroup_id_x 1
		.amdhsa_system_sgpr_workgroup_id_y 0
		.amdhsa_system_sgpr_workgroup_id_z 0
		.amdhsa_system_sgpr_workgroup_info 0
		.amdhsa_system_vgpr_workitem_id 0
		.amdhsa_next_free_vgpr 17
		.amdhsa_next_free_sgpr 14
		.amdhsa_accum_offset 20
		.amdhsa_reserve_vcc 1
		.amdhsa_reserve_flat_scratch 0
		.amdhsa_float_round_mode_32 0
		.amdhsa_float_round_mode_16_64 0
		.amdhsa_float_denorm_mode_32 3
		.amdhsa_float_denorm_mode_16_64 3
		.amdhsa_dx10_clamp 1
		.amdhsa_ieee_mode 1
		.amdhsa_fp16_overflow 0
		.amdhsa_tg_split 0
		.amdhsa_exception_fp_ieee_invalid_op 0
		.amdhsa_exception_fp_denorm_src 0
		.amdhsa_exception_fp_ieee_div_zero 0
		.amdhsa_exception_fp_ieee_overflow 0
		.amdhsa_exception_fp_ieee_underflow 0
		.amdhsa_exception_fp_ieee_inexact 0
		.amdhsa_exception_int_div_zero 0
	.end_amdhsa_kernel
	.section	.text._ZL21dequantize_block_q3_KIfEvPKvPT_,"axG",@progbits,_ZL21dequantize_block_q3_KIfEvPKvPT_,comdat
.Lfunc_end23:
	.size	_ZL21dequantize_block_q3_KIfEvPKvPT_, .Lfunc_end23-_ZL21dequantize_block_q3_KIfEvPKvPT_
                                        ; -- End function
	.section	.AMDGPU.csdata,"",@progbits
; Kernel info:
; codeLenInByte = 852
; NumSgprs: 18
; NumVgprs: 17
; NumAgprs: 0
; TotalNumVgprs: 17
; ScratchSize: 0
; MemoryBound: 0
; FloatMode: 240
; IeeeMode: 1
; LDSByteSize: 0 bytes/workgroup (compile time only)
; SGPRBlocks: 2
; VGPRBlocks: 2
; NumSGPRsForWavesPerEU: 18
; NumVGPRsForWavesPerEU: 17
; AccumOffset: 20
; Occupancy: 8
; WaveLimiterHint : 0
; COMPUTE_PGM_RSRC2:SCRATCH_EN: 0
; COMPUTE_PGM_RSRC2:USER_SGPR: 6
; COMPUTE_PGM_RSRC2:TRAP_HANDLER: 0
; COMPUTE_PGM_RSRC2:TGID_X_EN: 1
; COMPUTE_PGM_RSRC2:TGID_Y_EN: 0
; COMPUTE_PGM_RSRC2:TGID_Z_EN: 0
; COMPUTE_PGM_RSRC2:TIDIG_COMP_CNT: 0
; COMPUTE_PGM_RSRC3_GFX90A:ACCUM_OFFSET: 4
; COMPUTE_PGM_RSRC3_GFX90A:TG_SPLIT: 0
	.section	.text._ZL21dequantize_block_q4_KIfEvPKvPT_,"axG",@progbits,_ZL21dequantize_block_q4_KIfEvPKvPT_,comdat
	.globl	_ZL21dequantize_block_q4_KIfEvPKvPT_ ; -- Begin function _ZL21dequantize_block_q4_KIfEvPKvPT_
	.p2align	8
	.type	_ZL21dequantize_block_q4_KIfEvPKvPT_,@function
_ZL21dequantize_block_q4_KIfEvPKvPT_:   ; @_ZL21dequantize_block_q4_KIfEvPKvPT_
; %bb.0:
	s_load_dwordx2 s[0:1], s[4:5], 0x0
	s_mul_i32 s3, s6, 0x90
	v_lshrrev_b32_e32 v1, 3, v0
	s_mul_hi_u32 s2, s6, 0x90
	v_lshlrev_b32_e32 v4, 1, v1
	s_waitcnt lgkmcnt(0)
	s_add_u32 s8, s0, s3
	s_addc_u32 s9, s1, s2
	v_mov_b32_e32 v3, s9
	v_add_co_u32_e64 v2, s[0:1], s8, v4
	s_mov_b32 s7, 0
	v_cmp_lt_u32_e32 vcc, 15, v0
	v_addc_co_u32_e64 v3, s[0:1], 0, v3, s[0:1]
                                        ; implicit-def: $vgpr7
                                        ; implicit-def: $vgpr6
	s_and_saveexec_b64 s[0:1], vcc
	s_xor_b64 s[0:1], exec, s[0:1]
	s_cbranch_execz .LBB24_2
; %bb.1:
	global_load_ubyte v5, v[2:3], off offset:8
	global_load_ubyte v6, v[2:3], off
	global_load_ubyte v7, v[2:3], off offset:4
	s_waitcnt vmcnt(2)
	v_and_b32_e32 v8, 15, v5
	s_waitcnt vmcnt(1)
	v_lshrrev_b16_e32 v6, 2, v6
	s_waitcnt vmcnt(0)
	v_lshrrev_b16_e32 v7, 2, v7
	v_lshrrev_b16_e32 v5, 4, v5
	v_and_b32_e32 v6, 48, v6
	v_and_b32_e32 v7, 48, v7
	v_or_b32_e32 v6, v6, v8
	v_or_b32_e32 v7, v7, v5
.LBB24_2:
	s_andn2_saveexec_b64 s[0:1], s[0:1]
	s_cbranch_execz .LBB24_4
; %bb.3:
	global_load_ubyte v5, v[2:3], off offset:4
	global_load_ubyte v7, v[2:3], off offset:8
	s_waitcnt vmcnt(1)
	v_and_b32_e32 v6, 63, v5
	s_waitcnt vmcnt(0)
	v_and_b32_e32 v7, 63, v7
.LBB24_4:
	s_or_b64 exec, exec, s[0:1]
	s_load_dwordx2 s[2:3], s[4:5], 0x8
	s_load_dword s10, s[8:9], 0x0
	s_add_u32 s0, s8, 4
	s_addc_u32 s1, s9, 0
	v_mov_b32_e32 v5, s1
	v_add_co_u32_e64 v4, s[0:1], s0, v4
	v_addc_co_u32_e64 v5, s[0:1], 0, v5, s[0:1]
                                        ; implicit-def: $vgpr9
                                        ; implicit-def: $vgpr8
	s_and_saveexec_b64 s[0:1], vcc
	s_xor_b64 s[0:1], exec, s[0:1]
	s_cbranch_execz .LBB24_6
; %bb.5:
	global_load_ubyte v8, v[4:5], off offset:5
	global_load_ubyte v9, v[4:5], off offset:-3
	global_load_ubyte v10, v[4:5], off offset:1
	s_waitcnt vmcnt(2)
	v_and_b32_e32 v4, 15, v8
	s_waitcnt vmcnt(1)
	v_lshrrev_b16_e32 v5, 2, v9
	v_lshrrev_b16_e32 v9, 4, v8
	s_waitcnt vmcnt(0)
	v_lshrrev_b16_e32 v8, 2, v10
	v_and_b32_e32 v5, 48, v5
	v_and_b32_e32 v10, 48, v8
	v_or_b32_e32 v8, v5, v4
	v_or_b32_e32 v9, v10, v9
                                        ; implicit-def: $vgpr4_vgpr5
.LBB24_6:
	s_andn2_saveexec_b64 s[0:1], s[0:1]
	s_cbranch_execz .LBB24_8
; %bb.7:
	global_load_ubyte v8, v[4:5], off offset:1
	global_load_ubyte v9, v[4:5], off offset:5
	s_waitcnt vmcnt(1)
	v_and_b32_e32 v8, 63, v8
	s_waitcnt vmcnt(0)
	v_and_b32_e32 v9, 63, v9
.LBB24_8:
	s_or_b64 exec, exec, s[0:1]
	v_lshlrev_b32_e32 v0, 2, v0
	v_mad_u64_u32 v[2:3], s[0:1], v1, 30, v[2:3]
	v_and_b32_e32 v0, 28, v0
	v_add_co_u32_e32 v2, vcc, v2, v0
	v_addc_co_u32_e32 v3, vcc, 0, v3, vcc
	global_load_dword v2, v[2:3], off offset:16
	s_waitcnt lgkmcnt(0)
	s_lshr_b32 s4, s10, 16
	s_lshl_b64 s[0:1], s[6:7], 10
	s_add_u32 s0, s2, s0
	v_cvt_f32_f16_e32 v4, s10
	v_lshlrev_b32_e32 v1, 8, v1
	v_cvt_f32_f16_e32 v11, s4
	s_addc_u32 s1, s3, s1
	v_cvt_f32_ubyte0_e32 v5, v6
	v_cvt_f32_ubyte0_e32 v6, v8
	v_mov_b32_e32 v8, s1
	v_add_co_u32_e32 v1, vcc, s0, v1
	v_cvt_f32_ubyte0_e32 v3, v7
	v_cvt_f32_ubyte0_e32 v7, v9
	v_lshlrev_b32_e32 v0, 2, v0
	v_addc_co_u32_e32 v9, vcc, 0, v8, vcc
	v_mov_b32_e32 v10, 4
	v_add_co_u32_e32 v8, vcc, v1, v0
	v_mul_f32_e32 v5, v4, v5
	v_mul_f32_e32 v12, v4, v6
	;; [unrolled: 1-line block ×4, first 2 shown]
	v_addc_co_u32_e32 v9, vcc, 0, v9, vcc
	s_waitcnt vmcnt(0)
	v_lshrrev_b32_e32 v0, 8, v2
	v_and_b32_e32 v1, 15, v2
	v_lshrrev_b16_e32 v4, 4, v2
	v_bfe_u32 v6, v2, 8, 4
	v_bfe_u32 v11, v2, 16, 4
	;; [unrolled: 1-line block ×4, first 2 shown]
	v_lshrrev_b16_sdwa v2, v10, v2 dst_sel:DWORD dst_unused:UNUSED_PAD src0_sel:DWORD src1_sel:BYTE_3
	v_lshrrev_b16_e32 v10, 4, v0
	v_cvt_f32_ubyte0_e32 v1, v1
	v_and_b32_e32 v4, 15, v4
	v_cvt_f32_ubyte0_e32 v6, v6
	v_cvt_f32_ubyte0_e32 v11, v11
	;; [unrolled: 1-line block ×3, first 2 shown]
	v_and_b32_e32 v10, 15, v10
	v_cvt_f32_ubyte0_e32 v13, v13
	v_cvt_f32_ubyte0_e32 v15, v2
	v_fma_f32 v0, v5, v1, -v3
	v_cvt_f32_ubyte0_e32 v4, v4
	v_fma_f32 v1, v5, v6, -v3
	v_fma_f32 v2, v5, v11, -v3
	;; [unrolled: 1-line block ×3, first 2 shown]
	v_cvt_f32_ubyte0_e32 v5, v10
	v_fma_f32 v6, v12, v13, -v7
	v_fma_f32 v4, v12, v4, -v7
	;; [unrolled: 1-line block ×4, first 2 shown]
	global_store_dwordx4 v[8:9], v[0:3], off
	global_store_dwordx4 v[8:9], v[4:7], off offset:128
	s_endpgm
	.section	.rodata,"a",@progbits
	.p2align	6, 0x0
	.amdhsa_kernel _ZL21dequantize_block_q4_KIfEvPKvPT_
		.amdhsa_group_segment_fixed_size 0
		.amdhsa_private_segment_fixed_size 0
		.amdhsa_kernarg_size 16
		.amdhsa_user_sgpr_count 6
		.amdhsa_user_sgpr_private_segment_buffer 1
		.amdhsa_user_sgpr_dispatch_ptr 0
		.amdhsa_user_sgpr_queue_ptr 0
		.amdhsa_user_sgpr_kernarg_segment_ptr 1
		.amdhsa_user_sgpr_dispatch_id 0
		.amdhsa_user_sgpr_flat_scratch_init 0
		.amdhsa_user_sgpr_kernarg_preload_length 0
		.amdhsa_user_sgpr_kernarg_preload_offset 0
		.amdhsa_user_sgpr_private_segment_size 0
		.amdhsa_uses_dynamic_stack 0
		.amdhsa_system_sgpr_private_segment_wavefront_offset 0
		.amdhsa_system_sgpr_workgroup_id_x 1
		.amdhsa_system_sgpr_workgroup_id_y 0
		.amdhsa_system_sgpr_workgroup_id_z 0
		.amdhsa_system_sgpr_workgroup_info 0
		.amdhsa_system_vgpr_workitem_id 0
		.amdhsa_next_free_vgpr 16
		.amdhsa_next_free_sgpr 11
		.amdhsa_accum_offset 16
		.amdhsa_reserve_vcc 1
		.amdhsa_reserve_flat_scratch 0
		.amdhsa_float_round_mode_32 0
		.amdhsa_float_round_mode_16_64 0
		.amdhsa_float_denorm_mode_32 3
		.amdhsa_float_denorm_mode_16_64 3
		.amdhsa_dx10_clamp 1
		.amdhsa_ieee_mode 1
		.amdhsa_fp16_overflow 0
		.amdhsa_tg_split 0
		.amdhsa_exception_fp_ieee_invalid_op 0
		.amdhsa_exception_fp_denorm_src 0
		.amdhsa_exception_fp_ieee_div_zero 0
		.amdhsa_exception_fp_ieee_overflow 0
		.amdhsa_exception_fp_ieee_underflow 0
		.amdhsa_exception_fp_ieee_inexact 0
		.amdhsa_exception_int_div_zero 0
	.end_amdhsa_kernel
	.section	.text._ZL21dequantize_block_q4_KIfEvPKvPT_,"axG",@progbits,_ZL21dequantize_block_q4_KIfEvPKvPT_,comdat
.Lfunc_end24:
	.size	_ZL21dequantize_block_q4_KIfEvPKvPT_, .Lfunc_end24-_ZL21dequantize_block_q4_KIfEvPKvPT_
                                        ; -- End function
	.section	.AMDGPU.csdata,"",@progbits
; Kernel info:
; codeLenInByte = 672
; NumSgprs: 15
; NumVgprs: 16
; NumAgprs: 0
; TotalNumVgprs: 16
; ScratchSize: 0
; MemoryBound: 0
; FloatMode: 240
; IeeeMode: 1
; LDSByteSize: 0 bytes/workgroup (compile time only)
; SGPRBlocks: 1
; VGPRBlocks: 1
; NumSGPRsForWavesPerEU: 15
; NumVGPRsForWavesPerEU: 16
; AccumOffset: 16
; Occupancy: 8
; WaveLimiterHint : 1
; COMPUTE_PGM_RSRC2:SCRATCH_EN: 0
; COMPUTE_PGM_RSRC2:USER_SGPR: 6
; COMPUTE_PGM_RSRC2:TRAP_HANDLER: 0
; COMPUTE_PGM_RSRC2:TGID_X_EN: 1
; COMPUTE_PGM_RSRC2:TGID_Y_EN: 0
; COMPUTE_PGM_RSRC2:TGID_Z_EN: 0
; COMPUTE_PGM_RSRC2:TIDIG_COMP_CNT: 0
; COMPUTE_PGM_RSRC3_GFX90A:ACCUM_OFFSET: 3
; COMPUTE_PGM_RSRC3_GFX90A:TG_SPLIT: 0
	.section	.text._ZL21dequantize_block_q5_KIfEvPKvPT_,"axG",@progbits,_ZL21dequantize_block_q5_KIfEvPKvPT_,comdat
	.globl	_ZL21dequantize_block_q5_KIfEvPKvPT_ ; -- Begin function _ZL21dequantize_block_q5_KIfEvPKvPT_
	.p2align	8
	.type	_ZL21dequantize_block_q5_KIfEvPKvPT_,@function
_ZL21dequantize_block_q5_KIfEvPKvPT_:   ; @_ZL21dequantize_block_q5_KIfEvPKvPT_
; %bb.0:
	s_load_dwordx2 s[0:1], s[4:5], 0x0
	s_mul_i32 s2, s6, 0xb0
	v_lshrrev_b32_e32 v1, 4, v0
	s_mul_hi_u32 s3, s6, 0xb0
	v_lshlrev_b32_e32 v2, 1, v1
	s_waitcnt lgkmcnt(0)
	s_add_u32 s2, s0, s2
	s_addc_u32 s3, s1, s3
	v_mov_b32_e32 v3, s3
	v_add_co_u32_e64 v4, s[0:1], s2, v2
	s_mov_b32 s7, 0
	v_cmp_lt_u32_e32 vcc, 31, v0
	v_addc_co_u32_e64 v5, s[0:1], 0, v3, s[0:1]
                                        ; implicit-def: $vgpr8
                                        ; implicit-def: $vgpr3
	s_and_saveexec_b64 s[0:1], vcc
	s_xor_b64 s[0:1], exec, s[0:1]
	s_cbranch_execz .LBB25_2
; %bb.1:
	global_load_ubyte v3, v[4:5], off offset:8
	global_load_ubyte v6, v[4:5], off
	global_load_ubyte v7, v[4:5], off offset:4
	s_waitcnt vmcnt(2)
	v_and_b32_e32 v8, 15, v3
	s_waitcnt vmcnt(1)
	v_lshrrev_b16_e32 v6, 2, v6
	v_lshrrev_b16_e32 v9, 4, v3
	s_waitcnt vmcnt(0)
	v_lshrrev_b16_e32 v3, 2, v7
	v_and_b32_e32 v6, 48, v6
	v_and_b32_e32 v7, 48, v3
	v_or_b32_e32 v3, v6, v8
	v_or_b32_e32 v8, v7, v9
.LBB25_2:
	s_andn2_saveexec_b64 s[0:1], s[0:1]
	s_cbranch_execz .LBB25_4
; %bb.3:
	global_load_ubyte v3, v[4:5], off offset:4
	global_load_ubyte v6, v[4:5], off offset:8
	s_waitcnt vmcnt(1)
	v_and_b32_e32 v3, 63, v3
	s_waitcnt vmcnt(0)
	v_and_b32_e32 v8, 63, v6
.LBB25_4:
	s_or_b64 exec, exec, s[0:1]
	s_load_dwordx2 s[8:9], s[4:5], 0x8
	s_load_dword s10, s[2:3], 0x0
	s_add_u32 s0, s2, 4
	s_addc_u32 s1, s3, 0
	v_mov_b32_e32 v7, s1
	v_add_co_u32_e64 v6, s[0:1], s0, v2
	v_addc_co_u32_e64 v7, s[0:1], 0, v7, s[0:1]
                                        ; implicit-def: $vgpr10
                                        ; implicit-def: $vgpr9
	s_and_saveexec_b64 s[0:1], vcc
	s_xor_b64 s[0:1], exec, s[0:1]
	s_cbranch_execz .LBB25_6
; %bb.5:
	global_load_ubyte v9, v[6:7], off offset:5
	global_load_ubyte v10, v[6:7], off offset:-3
	global_load_ubyte v11, v[6:7], off offset:1
	s_waitcnt vmcnt(2)
	v_and_b32_e32 v6, 15, v9
	s_waitcnt vmcnt(1)
	v_lshrrev_b16_e32 v7, 2, v10
	v_lshrrev_b16_e32 v10, 4, v9
	s_waitcnt vmcnt(0)
	v_lshrrev_b16_e32 v9, 2, v11
	v_and_b32_e32 v7, 48, v7
	v_and_b32_e32 v11, 48, v9
	v_or_b32_e32 v9, v7, v6
	v_or_b32_e32 v10, v11, v10
                                        ; implicit-def: $vgpr6_vgpr7
.LBB25_6:
	s_andn2_saveexec_b64 s[0:1], s[0:1]
	s_cbranch_execz .LBB25_8
; %bb.7:
	global_load_ubyte v9, v[6:7], off offset:1
	global_load_ubyte v10, v[6:7], off offset:5
	s_waitcnt vmcnt(1)
	v_and_b32_e32 v9, 63, v9
	s_waitcnt vmcnt(0)
	v_and_b32_e32 v10, 63, v10
.LBB25_8:
	s_or_b64 exec, exec, s[0:1]
	v_lshlrev_b32_e32 v0, 1, v0
	v_and_b32_e32 v0, 30, v0
	v_mad_u64_u32 v[4:5], s[0:1], v1, 30, v[4:5]
	v_add_co_u32_e32 v4, vcc, v4, v0
	v_addc_co_u32_e32 v5, vcc, 0, v5, vcc
	global_load_ushort v6, v[4:5], off offset:48
	global_load_ushort v7, v0, s[2:3] offset:16
	s_waitcnt lgkmcnt(0)
	s_lshr_b32 s2, s10, 16
	s_lshl_b64 s[0:1], s[6:7], 10
	s_add_u32 s0, s8, s0
	v_cvt_f32_f16_e32 v5, s10
	v_lshlrev_b32_e32 v1, 8, v1
	v_cvt_f32_f16_e32 v12, s2
	s_addc_u32 s1, s9, s1
	v_mov_b32_e32 v13, s1
	v_add_co_u32_e32 v1, vcc, s0, v1
	v_lshlrev_b32_e32 v0, 2, v0
	v_addc_co_u32_e32 v13, vcc, 0, v13, vcc
	v_cvt_f32_ubyte0_e32 v4, v8
	v_cvt_f32_ubyte0_e32 v3, v3
	v_cvt_f32_ubyte0_e32 v8, v9
	v_cvt_f32_ubyte0_e32 v9, v10
	v_lshlrev_b32_e64 v10, v2, 1
	v_add_co_u32_e32 v0, vcc, v1, v0
	v_mul_f32_e32 v3, v5, v3
	v_mul_f32_e32 v5, v5, v8
	;; [unrolled: 1-line block ×3, first 2 shown]
	v_addc_co_u32_e32 v1, vcc, 0, v13, vcc
	v_mul_f32_e32 v8, v12, v9
	v_lshlrev_b32_e64 v2, v2, 2
	v_mov_b32_e32 v11, 15
	s_waitcnt vmcnt(1)
	v_lshrrev_b16_e32 v13, 4, v6
	s_waitcnt vmcnt(0)
	v_and_b32_sdwa v12, v10, v7 dst_sel:DWORD dst_unused:UNUSED_PAD src0_sel:DWORD src1_sel:BYTE_0
	v_and_b32_sdwa v10, v10, v7 dst_sel:DWORD dst_unused:UNUSED_PAD src0_sel:DWORD src1_sel:BYTE_1
	v_cmp_ne_u32_e32 vcc, 0, v12
	v_and_b32_sdwa v14, v2, v7 dst_sel:DWORD dst_unused:UNUSED_PAD src0_sel:DWORD src1_sel:BYTE_0
	v_and_b32_sdwa v2, v2, v7 dst_sel:DWORD dst_unused:UNUSED_PAD src0_sel:DWORD src1_sel:BYTE_1
	v_cndmask_b32_e64 v7, 0, 1, vcc
	v_cmp_ne_u32_e32 vcc, 0, v10
	v_cndmask_b32_e64 v10, 0, 1, vcc
	v_cmp_ne_u32_e32 vcc, 0, v14
	v_and_b32_e32 v9, 15, v6
	v_and_b32_sdwa v11, v6, v11 dst_sel:DWORD dst_unused:UNUSED_PAD src0_sel:BYTE_1 src1_sel:DWORD
	v_and_b32_e32 v12, 15, v13
	v_cndmask_b32_e64 v13, 0, 1, vcc
	v_cmp_ne_u32_e32 vcc, 0, v2
	v_lshrrev_b16_e32 v6, 12, v6
	v_cndmask_b32_e64 v2, 0, 1, vcc
	v_lshl_or_b32 v7, v7, 4, v9
	v_lshl_or_b32 v9, v10, 4, v11
	v_lshl_or_b32 v10, v13, 4, v12
	v_lshl_or_b32 v2, v2, 4, v6
	v_cvt_f32_ubyte0_e32 v6, v7
	v_cvt_f32_ubyte0_e32 v7, v9
	;; [unrolled: 1-line block ×4, first 2 shown]
	v_fma_f32 v2, v3, v6, -v4
	v_fma_f32 v3, v3, v7, -v4
	;; [unrolled: 1-line block ×4, first 2 shown]
	global_store_dwordx2 v[0:1], v[2:3], off
	global_store_dwordx2 v[0:1], v[4:5], off offset:128
	s_endpgm
	.section	.rodata,"a",@progbits
	.p2align	6, 0x0
	.amdhsa_kernel _ZL21dequantize_block_q5_KIfEvPKvPT_
		.amdhsa_group_segment_fixed_size 0
		.amdhsa_private_segment_fixed_size 0
		.amdhsa_kernarg_size 16
		.amdhsa_user_sgpr_count 6
		.amdhsa_user_sgpr_private_segment_buffer 1
		.amdhsa_user_sgpr_dispatch_ptr 0
		.amdhsa_user_sgpr_queue_ptr 0
		.amdhsa_user_sgpr_kernarg_segment_ptr 1
		.amdhsa_user_sgpr_dispatch_id 0
		.amdhsa_user_sgpr_flat_scratch_init 0
		.amdhsa_user_sgpr_kernarg_preload_length 0
		.amdhsa_user_sgpr_kernarg_preload_offset 0
		.amdhsa_user_sgpr_private_segment_size 0
		.amdhsa_uses_dynamic_stack 0
		.amdhsa_system_sgpr_private_segment_wavefront_offset 0
		.amdhsa_system_sgpr_workgroup_id_x 1
		.amdhsa_system_sgpr_workgroup_id_y 0
		.amdhsa_system_sgpr_workgroup_id_z 0
		.amdhsa_system_sgpr_workgroup_info 0
		.amdhsa_system_vgpr_workitem_id 0
		.amdhsa_next_free_vgpr 15
		.amdhsa_next_free_sgpr 11
		.amdhsa_accum_offset 16
		.amdhsa_reserve_vcc 1
		.amdhsa_reserve_flat_scratch 0
		.amdhsa_float_round_mode_32 0
		.amdhsa_float_round_mode_16_64 0
		.amdhsa_float_denorm_mode_32 3
		.amdhsa_float_denorm_mode_16_64 3
		.amdhsa_dx10_clamp 1
		.amdhsa_ieee_mode 1
		.amdhsa_fp16_overflow 0
		.amdhsa_tg_split 0
		.amdhsa_exception_fp_ieee_invalid_op 0
		.amdhsa_exception_fp_denorm_src 0
		.amdhsa_exception_fp_ieee_div_zero 0
		.amdhsa_exception_fp_ieee_overflow 0
		.amdhsa_exception_fp_ieee_underflow 0
		.amdhsa_exception_fp_ieee_inexact 0
		.amdhsa_exception_int_div_zero 0
	.end_amdhsa_kernel
	.section	.text._ZL21dequantize_block_q5_KIfEvPKvPT_,"axG",@progbits,_ZL21dequantize_block_q5_KIfEvPKvPT_,comdat
.Lfunc_end25:
	.size	_ZL21dequantize_block_q5_KIfEvPKvPT_, .Lfunc_end25-_ZL21dequantize_block_q5_KIfEvPKvPT_
                                        ; -- End function
	.section	.AMDGPU.csdata,"",@progbits
; Kernel info:
; codeLenInByte = 724
; NumSgprs: 15
; NumVgprs: 15
; NumAgprs: 0
; TotalNumVgprs: 15
; ScratchSize: 0
; MemoryBound: 0
; FloatMode: 240
; IeeeMode: 1
; LDSByteSize: 0 bytes/workgroup (compile time only)
; SGPRBlocks: 1
; VGPRBlocks: 1
; NumSGPRsForWavesPerEU: 15
; NumVGPRsForWavesPerEU: 15
; AccumOffset: 16
; Occupancy: 8
; WaveLimiterHint : 1
; COMPUTE_PGM_RSRC2:SCRATCH_EN: 0
; COMPUTE_PGM_RSRC2:USER_SGPR: 6
; COMPUTE_PGM_RSRC2:TRAP_HANDLER: 0
; COMPUTE_PGM_RSRC2:TGID_X_EN: 1
; COMPUTE_PGM_RSRC2:TGID_Y_EN: 0
; COMPUTE_PGM_RSRC2:TGID_Z_EN: 0
; COMPUTE_PGM_RSRC2:TIDIG_COMP_CNT: 0
; COMPUTE_PGM_RSRC3_GFX90A:ACCUM_OFFSET: 3
; COMPUTE_PGM_RSRC3_GFX90A:TG_SPLIT: 0
	.section	.text._ZL21dequantize_block_q6_KIfEvPKvPT_,"axG",@progbits,_ZL21dequantize_block_q6_KIfEvPKvPT_,comdat
	.globl	_ZL21dequantize_block_q6_KIfEvPKvPT_ ; -- Begin function _ZL21dequantize_block_q6_KIfEvPKvPT_
	.p2align	8
	.type	_ZL21dequantize_block_q6_KIfEvPKvPT_,@function
_ZL21dequantize_block_q6_KIfEvPKvPT_:   ; @_ZL21dequantize_block_q6_KIfEvPKvPT_
; %bb.0:
	s_load_dwordx4 s[0:3], s[4:5], 0x0
	s_mov_b32 s7, 0
	s_lshl_b64 s[4:5], s[6:7], 10
	v_lshrrev_b32_e32 v2, 5, v0
	v_mov_b32_e32 v1, 0
	s_waitcnt lgkmcnt(0)
	s_add_u32 s2, s2, s4
	s_addc_u32 s3, s3, s5
	s_mul_i32 s5, s6, 0xd2
	s_mul_hi_u32 s4, s6, 0xd2
	s_add_u32 s0, s0, s5
	s_addc_u32 s1, s1, s4
	v_bfe_u32 v4, v0, 4, 1
	global_load_ushort v5, v1, s[0:1] offset:208
	v_lshlrev_b32_e32 v1, 6, v2
	v_and_b32_e32 v3, 31, v0
	v_lshl_or_b32 v4, v2, 3, v4
	v_mov_b32_e32 v6, s1
	global_load_ubyte v7, v0, s[0:1] offset:128
	global_load_sbyte v8, v4, s[0:1] offset:192
	global_load_sbyte v9, v4, s[0:1] offset:194
	;; [unrolled: 1-line block ×3, first 2 shown]
	v_add_co_u32_e32 v0, vcc, s0, v1
	v_addc_co_u32_e32 v1, vcc, 0, v6, vcc
	v_add_co_u32_e32 v0, vcc, v0, v3
	v_addc_co_u32_e32 v1, vcc, 0, v1, vcc
	global_load_ubyte v6, v[0:1], off
	global_load_ubyte v11, v[0:1], off offset:32
	global_load_sbyte v12, v4, s[0:1] offset:198
	v_lshlrev_b32_e32 v0, 9, v2
	v_mov_b32_e32 v2, s3
	v_add_co_u32_e32 v0, vcc, s2, v0
	v_lshlrev_b32_e32 v1, 2, v3
	v_addc_co_u32_e32 v2, vcc, 0, v2, vcc
	v_add_co_u32_e32 v0, vcc, v0, v1
	v_addc_co_u32_e32 v1, vcc, 0, v2, vcc
	v_mov_b32_e32 v4, 32
	s_waitcnt vmcnt(7)
	v_cvt_f32_f16_e32 v2, v5
	s_waitcnt vmcnt(6)
	v_lshlrev_b16_e32 v5, 4, v7
	s_waitcnt vmcnt(5)
	v_cvt_f32_i32_e32 v3, v8
	s_waitcnt vmcnt(4)
	v_cvt_f32_i32_e32 v8, v9
	v_lshlrev_b16_e32 v9, 2, v7
	v_and_b32_e32 v13, 48, v7
	v_lshrrev_b16_e32 v7, 2, v7
	v_and_b32_e32 v5, 48, v5
	v_and_b32_e32 v9, 48, v9
	;; [unrolled: 1-line block ×3, first 2 shown]
	s_waitcnt vmcnt(3)
	v_cvt_f32_i32_e32 v10, v10
	s_waitcnt vmcnt(2)
	v_and_b32_e32 v14, 15, v6
	s_waitcnt vmcnt(1)
	v_and_b32_e32 v15, 15, v11
	v_lshrrev_b16_e32 v6, 4, v6
	v_lshrrev_b16_e32 v11, 4, v11
	v_or_b32_e32 v5, v14, v5
	v_or_b32_e32 v9, v15, v9
	;; [unrolled: 1-line block ×4, first 2 shown]
	v_sub_u32_sdwa v5, v5, v4 dst_sel:DWORD dst_unused:UNUSED_PAD src0_sel:WORD_0 src1_sel:DWORD
	s_waitcnt vmcnt(0)
	v_cvt_f32_i32_e32 v12, v12
	v_sub_u32_sdwa v9, v9, v4 dst_sel:DWORD dst_unused:UNUSED_PAD src0_sel:WORD_0 src1_sel:DWORD
	v_sub_u32_sdwa v6, v6, v4 dst_sel:DWORD dst_unused:UNUSED_PAD src0_sel:WORD_0 src1_sel:DWORD
	;; [unrolled: 1-line block ×3, first 2 shown]
	v_cvt_f32_i32_e32 v5, v5
	v_cvt_f32_i32_e32 v7, v9
	;; [unrolled: 1-line block ×4, first 2 shown]
	v_mul_f32_e32 v3, v2, v3
	v_mul_f32_e32 v8, v2, v8
	;; [unrolled: 1-line block ×8, first 2 shown]
	global_store_dword v[0:1], v3, off
	global_store_dword v[0:1], v5, off offset:128
	global_store_dword v[0:1], v6, off offset:256
	;; [unrolled: 1-line block ×3, first 2 shown]
	s_endpgm
	.section	.rodata,"a",@progbits
	.p2align	6, 0x0
	.amdhsa_kernel _ZL21dequantize_block_q6_KIfEvPKvPT_
		.amdhsa_group_segment_fixed_size 0
		.amdhsa_private_segment_fixed_size 0
		.amdhsa_kernarg_size 16
		.amdhsa_user_sgpr_count 6
		.amdhsa_user_sgpr_private_segment_buffer 1
		.amdhsa_user_sgpr_dispatch_ptr 0
		.amdhsa_user_sgpr_queue_ptr 0
		.amdhsa_user_sgpr_kernarg_segment_ptr 1
		.amdhsa_user_sgpr_dispatch_id 0
		.amdhsa_user_sgpr_flat_scratch_init 0
		.amdhsa_user_sgpr_kernarg_preload_length 0
		.amdhsa_user_sgpr_kernarg_preload_offset 0
		.amdhsa_user_sgpr_private_segment_size 0
		.amdhsa_uses_dynamic_stack 0
		.amdhsa_system_sgpr_private_segment_wavefront_offset 0
		.amdhsa_system_sgpr_workgroup_id_x 1
		.amdhsa_system_sgpr_workgroup_id_y 0
		.amdhsa_system_sgpr_workgroup_id_z 0
		.amdhsa_system_sgpr_workgroup_info 0
		.amdhsa_system_vgpr_workitem_id 0
		.amdhsa_next_free_vgpr 16
		.amdhsa_next_free_sgpr 8
		.amdhsa_accum_offset 16
		.amdhsa_reserve_vcc 1
		.amdhsa_reserve_flat_scratch 0
		.amdhsa_float_round_mode_32 0
		.amdhsa_float_round_mode_16_64 0
		.amdhsa_float_denorm_mode_32 3
		.amdhsa_float_denorm_mode_16_64 3
		.amdhsa_dx10_clamp 1
		.amdhsa_ieee_mode 1
		.amdhsa_fp16_overflow 0
		.amdhsa_tg_split 0
		.amdhsa_exception_fp_ieee_invalid_op 0
		.amdhsa_exception_fp_denorm_src 0
		.amdhsa_exception_fp_ieee_div_zero 0
		.amdhsa_exception_fp_ieee_overflow 0
		.amdhsa_exception_fp_ieee_underflow 0
		.amdhsa_exception_fp_ieee_inexact 0
		.amdhsa_exception_int_div_zero 0
	.end_amdhsa_kernel
	.section	.text._ZL21dequantize_block_q6_KIfEvPKvPT_,"axG",@progbits,_ZL21dequantize_block_q6_KIfEvPKvPT_,comdat
.Lfunc_end26:
	.size	_ZL21dequantize_block_q6_KIfEvPKvPT_, .Lfunc_end26-_ZL21dequantize_block_q6_KIfEvPKvPT_
                                        ; -- End function
	.section	.AMDGPU.csdata,"",@progbits
; Kernel info:
; codeLenInByte = 428
; NumSgprs: 12
; NumVgprs: 16
; NumAgprs: 0
; TotalNumVgprs: 16
; ScratchSize: 0
; MemoryBound: 0
; FloatMode: 240
; IeeeMode: 1
; LDSByteSize: 0 bytes/workgroup (compile time only)
; SGPRBlocks: 1
; VGPRBlocks: 1
; NumSGPRsForWavesPerEU: 12
; NumVGPRsForWavesPerEU: 16
; AccumOffset: 16
; Occupancy: 8
; WaveLimiterHint : 0
; COMPUTE_PGM_RSRC2:SCRATCH_EN: 0
; COMPUTE_PGM_RSRC2:USER_SGPR: 6
; COMPUTE_PGM_RSRC2:TRAP_HANDLER: 0
; COMPUTE_PGM_RSRC2:TGID_X_EN: 1
; COMPUTE_PGM_RSRC2:TGID_Y_EN: 0
; COMPUTE_PGM_RSRC2:TGID_Z_EN: 0
; COMPUTE_PGM_RSRC2:TIDIG_COMP_CNT: 0
; COMPUTE_PGM_RSRC3_GFX90A:ACCUM_OFFSET: 3
; COMPUTE_PGM_RSRC3_GFX90A:TG_SPLIT: 0
	.section	.text._ZL24dequantize_block_iq2_xxsIfEvPKvPT_,"axG",@progbits,_ZL24dequantize_block_iq2_xxsIfEvPKvPT_,comdat
	.globl	_ZL24dequantize_block_iq2_xxsIfEvPKvPT_ ; -- Begin function _ZL24dequantize_block_iq2_xxsIfEvPKvPT_
	.p2align	8
	.type	_ZL24dequantize_block_iq2_xxsIfEvPKvPT_,@function
_ZL24dequantize_block_iq2_xxsIfEvPKvPT_: ; @_ZL24dequantize_block_iq2_xxsIfEvPKvPT_
; %bb.0:
	s_load_dwordx4 s[0:3], s[4:5], 0x0
	s_mov_b32 s7, 0
	s_lshl_b64 s[4:5], s[6:7], 10
	v_and_b32_e32 v4, 7, v0
	v_lshlrev_b32_e32 v5, 3, v4
	s_waitcnt lgkmcnt(0)
	s_add_u32 s4, s2, s4
	s_addc_u32 s5, s3, s5
	s_mul_i32 s3, s6, 0x42
	s_mul_hi_u32 s2, s6, 0x42
	s_add_u32 s0, s0, s3
	s_addc_u32 s1, s1, s2
	v_mov_b32_e32 v2, s1
	v_add_co_u32_e32 v3, vcc, s0, v5
	v_lshrrev_b32_e32 v1, 3, v0
	v_addc_co_u32_e32 v6, vcc, 0, v2, vcc
	v_add_co_u32_e32 v2, vcc, v3, v1
	v_addc_co_u32_e32 v3, vcc, 0, v6, vcc
	global_load_ubyte v6, v[2:3], off offset:2
	global_load_dword v7, v5, s[0:1] offset:6
	v_mov_b32_e32 v2, 0
	global_load_ushort v5, v2, s[0:1]
	s_getpc_b64 s[0:1]
	s_add_u32 s0, s0, _ZL11iq2xxs_grid@rel32@lo+4
	s_addc_u32 s1, s1, _ZL11iq2xxs_grid@rel32@hi+12
	v_mul_u32_u24_e32 v1, 7, v1
	s_getpc_b64 s[2:3]
	s_add_u32 s2, s2, _ZL12ksigns_iq2xs@rel32@lo+4
	s_addc_u32 s3, s3, _ZL12ksigns_iq2xs@rel32@hi+12
	v_and_b32_e32 v0, 0x3f8, v0
	v_lshlrev_b32_e32 v0, 2, v0
	s_waitcnt vmcnt(2)
	v_lshlrev_b32_e32 v6, 3, v6
	s_waitcnt vmcnt(1)
	v_bfe_u32 v10, v7, v1, 7
	global_load_dwordx2 v[2:3], v6, s[0:1]
	global_load_sbyte v11, v10, s[2:3]
	v_lshlrev_b32_e32 v1, 7, v4
	v_mov_b32_e32 v4, s5
	v_add_co_u32_e32 v1, vcc, s4, v1
	v_addc_co_u32_e32 v4, vcc, 0, v4, vcc
	v_add_co_u32_e32 v8, vcc, v1, v0
	s_waitcnt vmcnt(2)
	v_cvt_f32_f16_e32 v0, v5
	v_lshrrev_b32_e32 v1, 28, v7
	v_cvt_f32_ubyte0_e32 v1, v1
	v_add_f32_e32 v1, 0.5, v1
	v_mul_f32_e32 v0, v1, v0
	v_addc_co_u32_e32 v9, vcc, 0, v4, vcc
	v_mul_f32_e32 v0, 0x3e800000, v0
	s_waitcnt vmcnt(1)
	v_cvt_f32_ubyte0_e32 v1, v2
	s_waitcnt vmcnt(0)
	v_and_b32_e32 v4, 1, v11
	v_cvt_f32_ubyte1_e32 v5, v2
	v_and_b32_e32 v6, 2, v11
	v_cvt_f32_ubyte2_e32 v7, v2
	v_cvt_f32_ubyte3_e32 v2, v2
	v_cvt_f32_ubyte0_e32 v14, v3
	v_cvt_f32_ubyte1_e32 v16, v3
	v_cvt_f32_ubyte2_e32 v18, v3
	v_cvt_f32_ubyte3_e32 v3, v3
	v_mul_f32_e32 v1, v0, v1
	v_cmp_eq_u16_e32 vcc, 0, v4
	v_and_b32_e32 v12, 4, v11
	v_mul_f32_e32 v5, v0, v5
	v_mul_f32_e32 v7, v0, v7
	;; [unrolled: 1-line block ×7, first 2 shown]
	v_cndmask_b32_e64 v0, -v1, v1, vcc
	v_cmp_eq_u16_e32 vcc, 0, v6
	v_and_b32_e32 v13, 8, v11
	v_cndmask_b32_e64 v1, -v5, v5, vcc
	v_cmp_eq_u16_e32 vcc, 0, v12
	v_and_b32_e32 v15, 16, v11
	;; [unrolled: 3-line block ×3, first 2 shown]
	v_cndmask_b32_e64 v3, -v19, v19, vcc
	v_cmp_eq_u16_e32 vcc, 0, v15
	v_cndmask_b32_e64 v4, -v14, v14, vcc
	v_cmp_eq_u16_e32 vcc, 0, v17
	v_cndmask_b32_e64 v5, -v16, v16, vcc
	v_cmp_gt_u32_e32 vcc, 64, v10
	v_cndmask_b32_e64 v6, -v18, v18, vcc
	v_cmp_gt_i16_e32 vcc, 0, v11
	v_cndmask_b32_e64 v7, v20, -v20, vcc
	global_store_dwordx4 v[8:9], v[0:3], off
	global_store_dwordx4 v[8:9], v[4:7], off offset:16
	s_endpgm
	.section	.rodata,"a",@progbits
	.p2align	6, 0x0
	.amdhsa_kernel _ZL24dequantize_block_iq2_xxsIfEvPKvPT_
		.amdhsa_group_segment_fixed_size 0
		.amdhsa_private_segment_fixed_size 0
		.amdhsa_kernarg_size 16
		.amdhsa_user_sgpr_count 6
		.amdhsa_user_sgpr_private_segment_buffer 1
		.amdhsa_user_sgpr_dispatch_ptr 0
		.amdhsa_user_sgpr_queue_ptr 0
		.amdhsa_user_sgpr_kernarg_segment_ptr 1
		.amdhsa_user_sgpr_dispatch_id 0
		.amdhsa_user_sgpr_flat_scratch_init 0
		.amdhsa_user_sgpr_kernarg_preload_length 0
		.amdhsa_user_sgpr_kernarg_preload_offset 0
		.amdhsa_user_sgpr_private_segment_size 0
		.amdhsa_uses_dynamic_stack 0
		.amdhsa_system_sgpr_private_segment_wavefront_offset 0
		.amdhsa_system_sgpr_workgroup_id_x 1
		.amdhsa_system_sgpr_workgroup_id_y 0
		.amdhsa_system_sgpr_workgroup_id_z 0
		.amdhsa_system_sgpr_workgroup_info 0
		.amdhsa_system_vgpr_workitem_id 0
		.amdhsa_next_free_vgpr 21
		.amdhsa_next_free_sgpr 8
		.amdhsa_accum_offset 24
		.amdhsa_reserve_vcc 1
		.amdhsa_reserve_flat_scratch 0
		.amdhsa_float_round_mode_32 0
		.amdhsa_float_round_mode_16_64 0
		.amdhsa_float_denorm_mode_32 3
		.amdhsa_float_denorm_mode_16_64 3
		.amdhsa_dx10_clamp 1
		.amdhsa_ieee_mode 1
		.amdhsa_fp16_overflow 0
		.amdhsa_tg_split 0
		.amdhsa_exception_fp_ieee_invalid_op 0
		.amdhsa_exception_fp_denorm_src 0
		.amdhsa_exception_fp_ieee_div_zero 0
		.amdhsa_exception_fp_ieee_overflow 0
		.amdhsa_exception_fp_ieee_underflow 0
		.amdhsa_exception_fp_ieee_inexact 0
		.amdhsa_exception_int_div_zero 0
	.end_amdhsa_kernel
	.section	.text._ZL24dequantize_block_iq2_xxsIfEvPKvPT_,"axG",@progbits,_ZL24dequantize_block_iq2_xxsIfEvPKvPT_,comdat
.Lfunc_end27:
	.size	_ZL24dequantize_block_iq2_xxsIfEvPKvPT_, .Lfunc_end27-_ZL24dequantize_block_iq2_xxsIfEvPKvPT_
                                        ; -- End function
	.section	.AMDGPU.csdata,"",@progbits
; Kernel info:
; codeLenInByte = 472
; NumSgprs: 12
; NumVgprs: 21
; NumAgprs: 0
; TotalNumVgprs: 21
; ScratchSize: 0
; MemoryBound: 0
; FloatMode: 240
; IeeeMode: 1
; LDSByteSize: 0 bytes/workgroup (compile time only)
; SGPRBlocks: 1
; VGPRBlocks: 2
; NumSGPRsForWavesPerEU: 12
; NumVGPRsForWavesPerEU: 21
; AccumOffset: 24
; Occupancy: 8
; WaveLimiterHint : 0
; COMPUTE_PGM_RSRC2:SCRATCH_EN: 0
; COMPUTE_PGM_RSRC2:USER_SGPR: 6
; COMPUTE_PGM_RSRC2:TRAP_HANDLER: 0
; COMPUTE_PGM_RSRC2:TGID_X_EN: 1
; COMPUTE_PGM_RSRC2:TGID_Y_EN: 0
; COMPUTE_PGM_RSRC2:TGID_Z_EN: 0
; COMPUTE_PGM_RSRC2:TIDIG_COMP_CNT: 0
; COMPUTE_PGM_RSRC3_GFX90A:ACCUM_OFFSET: 5
; COMPUTE_PGM_RSRC3_GFX90A:TG_SPLIT: 0
	.section	.text._ZL23dequantize_block_iq2_xsIfEvPKvPT_,"axG",@progbits,_ZL23dequantize_block_iq2_xsIfEvPKvPT_,comdat
	.globl	_ZL23dequantize_block_iq2_xsIfEvPKvPT_ ; -- Begin function _ZL23dequantize_block_iq2_xsIfEvPKvPT_
	.p2align	8
	.type	_ZL23dequantize_block_iq2_xsIfEvPKvPT_,@function
_ZL23dequantize_block_iq2_xsIfEvPKvPT_: ; @_ZL23dequantize_block_iq2_xsIfEvPKvPT_
; %bb.0:
	s_load_dwordx4 s[0:3], s[4:5], 0x0
	s_mov_b32 s7, 0
	s_lshl_b64 s[4:5], s[6:7], 10
	v_and_b32_e32 v1, 7, v0
	v_lshlrev_b32_e32 v2, 3, v1
	s_waitcnt lgkmcnt(0)
	s_add_u32 s7, s2, s4
	s_addc_u32 s8, s3, s5
	s_mul_i32 s3, s6, 0x4a
	s_mul_hi_u32 s2, s6, 0x4a
	s_add_u32 s0, s0, s3
	s_addc_u32 s1, s1, s2
	v_mov_b32_e32 v3, s1
	v_add_co_u32_e32 v2, vcc, s0, v2
	v_lshrrev_b32_e32 v6, 2, v0
	v_addc_co_u32_e32 v3, vcc, 0, v3, vcc
	v_and_b32_e32 v4, 0xfe, v6
	v_add_co_u32_e32 v2, vcc, v2, v4
	v_addc_co_u32_e32 v3, vcc, 0, v3, vcc
	global_load_ushort v7, v[2:3], off offset:2
	v_mov_b32_e32 v2, 0
	global_load_ushort v10, v2, s[0:1]
	global_load_ubyte v11, v1, s[0:1] offset:66
	s_getpc_b64 s[2:3]
	s_add_u32 s2, s2, _ZL10iq2xs_grid@rel32@lo+4
	s_addc_u32 s3, s3, _ZL10iq2xs_grid@rel32@hi+12
	v_mov_b32_e32 v3, 3
	s_getpc_b64 s[4:5]
	s_add_u32 s4, s4, _ZL12ksigns_iq2xs@rel32@lo+4
	s_addc_u32 s5, s5, _ZL12ksigns_iq2xs@rel32@hi+12
	v_mov_b32_e32 v4, s5
	v_lshlrev_b32_e32 v1, 7, v1
	v_and_b32_e32 v0, 0x3f8, v0
	v_lshlrev_b32_e32 v0, 2, v0
	s_waitcnt vmcnt(2)
	v_and_b32_e32 v2, 0x1ff, v7
	v_lshrrev_b16_e32 v5, 9, v7
	v_lshlrev_b32_sdwa v8, v3, v2 dst_sel:DWORD dst_unused:UNUSED_PAD src0_sel:DWORD src1_sel:WORD_0
	v_add_co_u32_e32 v2, vcc, s4, v5
	v_addc_co_u32_e32 v3, vcc, 0, v4, vcc
	global_load_dwordx2 v[4:5], v8, s[2:3]
	global_load_sbyte v12, v[2:3], off
	v_mov_b32_e32 v3, s8
	v_add_co_u32_e32 v1, vcc, s7, v1
	v_addc_co_u32_e32 v3, vcc, 0, v3, vcc
	v_and_b32_e32 v2, 0xfc, v6
	v_add_co_u32_e32 v8, vcc, v1, v0
	s_waitcnt vmcnt(3)
	v_cvt_f32_f16_e32 v0, v10
	s_waitcnt vmcnt(2)
	v_bfe_u32 v1, v11, v2, 4
	v_cvt_f32_ubyte0_e32 v1, v1
	v_add_f32_e32 v1, 0.5, v1
	v_mul_f32_e32 v0, v1, v0
	v_addc_co_u32_e32 v9, vcc, 0, v3, vcc
	v_mul_f32_e32 v0, 0x3e800000, v0
	s_waitcnt vmcnt(1)
	v_cvt_f32_ubyte0_e32 v1, v4
	s_waitcnt vmcnt(0)
	v_and_b32_e32 v2, 1, v12
	v_cvt_f32_ubyte1_e32 v3, v4
	v_and_b32_e32 v6, 2, v12
	v_cvt_f32_ubyte2_e32 v10, v4
	v_cvt_f32_ubyte3_e32 v4, v4
	v_cvt_f32_ubyte0_e32 v14, v5
	v_cvt_f32_ubyte1_e32 v16, v5
	v_cvt_f32_ubyte2_e32 v18, v5
	v_cvt_f32_ubyte3_e32 v5, v5
	v_mul_f32_e32 v1, v0, v1
	v_cmp_eq_u16_e32 vcc, 0, v2
	v_and_b32_e32 v11, 4, v12
	v_mul_f32_e32 v3, v0, v3
	v_mul_f32_e32 v10, v0, v10
	;; [unrolled: 1-line block ×7, first 2 shown]
	v_cndmask_b32_e64 v0, -v1, v1, vcc
	v_cmp_eq_u16_e32 vcc, 0, v6
	v_and_b32_e32 v13, 8, v12
	v_cndmask_b32_e64 v1, -v3, v3, vcc
	v_cmp_eq_u16_e32 vcc, 0, v11
	v_and_b32_e32 v15, 16, v12
	;; [unrolled: 3-line block ×3, first 2 shown]
	v_cndmask_b32_e64 v3, -v4, v4, vcc
	v_cmp_eq_u16_e32 vcc, 0, v15
	v_cndmask_b32_e64 v4, -v14, v14, vcc
	v_cmp_eq_u16_e32 vcc, 0, v17
	v_cndmask_b32_e64 v5, -v16, v16, vcc
	v_cmp_gt_i16_e32 vcc, 0, v7
	v_cndmask_b32_e64 v6, v18, -v18, vcc
	v_cmp_gt_i16_e32 vcc, 0, v12
	v_cndmask_b32_e64 v7, v19, -v19, vcc
	global_store_dwordx4 v[8:9], v[0:3], off
	global_store_dwordx4 v[8:9], v[4:7], off offset:16
	s_endpgm
	.section	.rodata,"a",@progbits
	.p2align	6, 0x0
	.amdhsa_kernel _ZL23dequantize_block_iq2_xsIfEvPKvPT_
		.amdhsa_group_segment_fixed_size 0
		.amdhsa_private_segment_fixed_size 0
		.amdhsa_kernarg_size 16
		.amdhsa_user_sgpr_count 6
		.amdhsa_user_sgpr_private_segment_buffer 1
		.amdhsa_user_sgpr_dispatch_ptr 0
		.amdhsa_user_sgpr_queue_ptr 0
		.amdhsa_user_sgpr_kernarg_segment_ptr 1
		.amdhsa_user_sgpr_dispatch_id 0
		.amdhsa_user_sgpr_flat_scratch_init 0
		.amdhsa_user_sgpr_kernarg_preload_length 0
		.amdhsa_user_sgpr_kernarg_preload_offset 0
		.amdhsa_user_sgpr_private_segment_size 0
		.amdhsa_uses_dynamic_stack 0
		.amdhsa_system_sgpr_private_segment_wavefront_offset 0
		.amdhsa_system_sgpr_workgroup_id_x 1
		.amdhsa_system_sgpr_workgroup_id_y 0
		.amdhsa_system_sgpr_workgroup_id_z 0
		.amdhsa_system_sgpr_workgroup_info 0
		.amdhsa_system_vgpr_workitem_id 0
		.amdhsa_next_free_vgpr 20
		.amdhsa_next_free_sgpr 9
		.amdhsa_accum_offset 20
		.amdhsa_reserve_vcc 1
		.amdhsa_reserve_flat_scratch 0
		.amdhsa_float_round_mode_32 0
		.amdhsa_float_round_mode_16_64 0
		.amdhsa_float_denorm_mode_32 3
		.amdhsa_float_denorm_mode_16_64 3
		.amdhsa_dx10_clamp 1
		.amdhsa_ieee_mode 1
		.amdhsa_fp16_overflow 0
		.amdhsa_tg_split 0
		.amdhsa_exception_fp_ieee_invalid_op 0
		.amdhsa_exception_fp_denorm_src 0
		.amdhsa_exception_fp_ieee_div_zero 0
		.amdhsa_exception_fp_ieee_overflow 0
		.amdhsa_exception_fp_ieee_underflow 0
		.amdhsa_exception_fp_ieee_inexact 0
		.amdhsa_exception_int_div_zero 0
	.end_amdhsa_kernel
	.section	.text._ZL23dequantize_block_iq2_xsIfEvPKvPT_,"axG",@progbits,_ZL23dequantize_block_iq2_xsIfEvPKvPT_,comdat
.Lfunc_end28:
	.size	_ZL23dequantize_block_iq2_xsIfEvPKvPT_, .Lfunc_end28-_ZL23dequantize_block_iq2_xsIfEvPKvPT_
                                        ; -- End function
	.section	.AMDGPU.csdata,"",@progbits
; Kernel info:
; codeLenInByte = 512
; NumSgprs: 13
; NumVgprs: 20
; NumAgprs: 0
; TotalNumVgprs: 20
; ScratchSize: 0
; MemoryBound: 0
; FloatMode: 240
; IeeeMode: 1
; LDSByteSize: 0 bytes/workgroup (compile time only)
; SGPRBlocks: 1
; VGPRBlocks: 2
; NumSGPRsForWavesPerEU: 13
; NumVGPRsForWavesPerEU: 20
; AccumOffset: 20
; Occupancy: 8
; WaveLimiterHint : 0
; COMPUTE_PGM_RSRC2:SCRATCH_EN: 0
; COMPUTE_PGM_RSRC2:USER_SGPR: 6
; COMPUTE_PGM_RSRC2:TRAP_HANDLER: 0
; COMPUTE_PGM_RSRC2:TGID_X_EN: 1
; COMPUTE_PGM_RSRC2:TGID_Y_EN: 0
; COMPUTE_PGM_RSRC2:TGID_Z_EN: 0
; COMPUTE_PGM_RSRC2:TIDIG_COMP_CNT: 0
; COMPUTE_PGM_RSRC3_GFX90A:ACCUM_OFFSET: 4
; COMPUTE_PGM_RSRC3_GFX90A:TG_SPLIT: 0
	.section	.text._ZL22dequantize_block_iq2_sIfEvPKvPT_,"axG",@progbits,_ZL22dequantize_block_iq2_sIfEvPKvPT_,comdat
	.globl	_ZL22dequantize_block_iq2_sIfEvPKvPT_ ; -- Begin function _ZL22dequantize_block_iq2_sIfEvPKvPT_
	.p2align	8
	.type	_ZL22dequantize_block_iq2_sIfEvPKvPT_,@function
_ZL22dequantize_block_iq2_sIfEvPKvPT_:  ; @_ZL22dequantize_block_iq2_sIfEvPKvPT_
; %bb.0:
	s_load_dwordx4 s[0:3], s[4:5], 0x0
	s_mov_b32 s7, 0
	s_lshl_b64 s[4:5], s[6:7], 10
	v_and_b32_e32 v4, 7, v0
	v_lshrrev_b32_e32 v1, 3, v0
	s_waitcnt lgkmcnt(0)
	s_add_u32 s4, s2, s4
	s_addc_u32 s5, s3, s5
	s_mul_i32 s3, s6, 0x52
	s_mul_hi_u32 s2, s6, 0x52
	s_add_u32 s0, s0, s3
	v_lshlrev_b32_e32 v2, 2, v4
	s_addc_u32 s1, s1, s2
	v_add_co_u32_e32 v5, vcc, v2, v1
	v_addc_co_u32_e64 v6, s[2:3], 0, 0, vcc
	v_mov_b32_e32 v3, s1
	v_add_co_u32_e32 v2, vcc, s0, v5
	v_addc_co_u32_e32 v3, vcc, v3, v6, vcc
	global_load_ubyte v7, v4, s[0:1] offset:66
	global_load_ubyte v8, v[2:3], off offset:2
	s_add_u32 s2, s0, 2
	s_addc_u32 s3, s1, 0
	v_mov_b32_e32 v3, s3
	v_add_co_u32_e32 v2, vcc, s2, v5
	v_addc_co_u32_e32 v3, vcc, v3, v6, vcc
	v_lshlrev_b32_e32 v1, 1, v1
	v_mov_b32_e32 v9, 0
	global_load_sbyte v10, v[2:3], off offset:32
	global_load_ushort v5, v9, s[0:1]
	global_load_ubyte v6, v4, s[0:1] offset:74
	v_sub_u32_e32 v1, 8, v1
	s_movk_i32 s2, 0x300
	s_getpc_b64 s[0:1]
	s_add_u32 s0, s0, _ZL9iq2s_grid@rel32@lo+4
	s_addc_u32 s1, s1, _ZL9iq2s_grid@rel32@hi+12
	v_lshlrev_b32_e32 v4, 7, v4
	v_add_co_u32_e32 v4, vcc, s4, v4
	s_waitcnt vmcnt(4)
	v_lshlrev_b32_e32 v1, v1, v7
	s_waitcnt vmcnt(3)
	v_and_or_b32 v1, v1, s2, v8
	v_lshlrev_b32_e32 v1, 3, v1
	global_load_dwordx2 v[2:3], v1, s[0:1]
	v_and_b32_e32 v1, 0x3f8, v0
	v_mov_b32_e32 v7, s5
	v_lshrrev_b32_e32 v0, 2, v0
	v_lshlrev_b32_e32 v1, 2, v1
	v_addc_co_u32_e32 v7, vcc, 0, v7, vcc
	v_and_b32_e32 v0, 0xfc, v0
	v_add_co_u32_e32 v8, vcc, v4, v1
	s_waitcnt vmcnt(2)
	v_cvt_f32_f16_e32 v1, v5
	s_waitcnt vmcnt(1)
	v_bfe_u32 v0, v6, v0, 4
	v_cvt_f32_ubyte0_e32 v0, v0
	v_add_f32_e32 v0, 0.5, v0
	v_mul_f32_e32 v0, v0, v1
	v_addc_co_u32_e32 v9, vcc, 0, v7, vcc
	v_and_b32_e32 v4, 1, v10
	v_mul_f32_e32 v0, 0x3e800000, v0
	v_and_b32_e32 v5, 2, v10
	v_cmp_eq_u16_e32 vcc, 0, v4
	v_and_b32_e32 v6, 4, v10
	v_and_b32_e32 v7, 8, v10
	;; [unrolled: 1-line block ×5, first 2 shown]
	s_waitcnt vmcnt(0)
	v_cvt_f32_ubyte0_e32 v1, v2
	v_cvt_f32_ubyte1_e32 v14, v2
	v_cvt_f32_ubyte2_e32 v15, v2
	v_cvt_f32_ubyte3_e32 v2, v2
	v_cvt_f32_ubyte0_e32 v16, v3
	v_cvt_f32_ubyte1_e32 v17, v3
	v_cvt_f32_ubyte2_e32 v18, v3
	v_cvt_f32_ubyte3_e32 v3, v3
	v_mul_f32_e32 v1, v0, v1
	v_mul_f32_e32 v14, v0, v14
	v_mul_f32_e32 v15, v0, v15
	v_mul_f32_e32 v19, v0, v2
	v_mul_f32_e32 v16, v0, v16
	v_mul_f32_e32 v17, v0, v17
	v_mul_f32_e32 v18, v0, v18
	v_mul_f32_e32 v20, v0, v3
	v_cndmask_b32_e64 v0, -v1, v1, vcc
	v_cmp_eq_u16_e32 vcc, 0, v5
	v_cndmask_b32_e64 v1, -v14, v14, vcc
	v_cmp_eq_u16_e32 vcc, 0, v6
	;; [unrolled: 2-line block ×6, first 2 shown]
	v_cndmask_b32_e64 v6, -v18, v18, vcc
	v_cmp_gt_i16_e32 vcc, 0, v10
	v_cndmask_b32_e64 v7, v20, -v20, vcc
	global_store_dwordx4 v[8:9], v[0:3], off
	global_store_dwordx4 v[8:9], v[4:7], off offset:16
	s_endpgm
	.section	.rodata,"a",@progbits
	.p2align	6, 0x0
	.amdhsa_kernel _ZL22dequantize_block_iq2_sIfEvPKvPT_
		.amdhsa_group_segment_fixed_size 0
		.amdhsa_private_segment_fixed_size 0
		.amdhsa_kernarg_size 16
		.amdhsa_user_sgpr_count 6
		.amdhsa_user_sgpr_private_segment_buffer 1
		.amdhsa_user_sgpr_dispatch_ptr 0
		.amdhsa_user_sgpr_queue_ptr 0
		.amdhsa_user_sgpr_kernarg_segment_ptr 1
		.amdhsa_user_sgpr_dispatch_id 0
		.amdhsa_user_sgpr_flat_scratch_init 0
		.amdhsa_user_sgpr_kernarg_preload_length 0
		.amdhsa_user_sgpr_kernarg_preload_offset 0
		.amdhsa_user_sgpr_private_segment_size 0
		.amdhsa_uses_dynamic_stack 0
		.amdhsa_system_sgpr_private_segment_wavefront_offset 0
		.amdhsa_system_sgpr_workgroup_id_x 1
		.amdhsa_system_sgpr_workgroup_id_y 0
		.amdhsa_system_sgpr_workgroup_id_z 0
		.amdhsa_system_sgpr_workgroup_info 0
		.amdhsa_system_vgpr_workitem_id 0
		.amdhsa_next_free_vgpr 21
		.amdhsa_next_free_sgpr 8
		.amdhsa_accum_offset 24
		.amdhsa_reserve_vcc 1
		.amdhsa_reserve_flat_scratch 0
		.amdhsa_float_round_mode_32 0
		.amdhsa_float_round_mode_16_64 0
		.amdhsa_float_denorm_mode_32 3
		.amdhsa_float_denorm_mode_16_64 3
		.amdhsa_dx10_clamp 1
		.amdhsa_ieee_mode 1
		.amdhsa_fp16_overflow 0
		.amdhsa_tg_split 0
		.amdhsa_exception_fp_ieee_invalid_op 0
		.amdhsa_exception_fp_denorm_src 0
		.amdhsa_exception_fp_ieee_div_zero 0
		.amdhsa_exception_fp_ieee_overflow 0
		.amdhsa_exception_fp_ieee_underflow 0
		.amdhsa_exception_fp_ieee_inexact 0
		.amdhsa_exception_int_div_zero 0
	.end_amdhsa_kernel
	.section	.text._ZL22dequantize_block_iq2_sIfEvPKvPT_,"axG",@progbits,_ZL22dequantize_block_iq2_sIfEvPKvPT_,comdat
.Lfunc_end29:
	.size	_ZL22dequantize_block_iq2_sIfEvPKvPT_, .Lfunc_end29-_ZL22dequantize_block_iq2_sIfEvPKvPT_
                                        ; -- End function
	.section	.AMDGPU.csdata,"",@progbits
; Kernel info:
; codeLenInByte = 516
; NumSgprs: 12
; NumVgprs: 21
; NumAgprs: 0
; TotalNumVgprs: 21
; ScratchSize: 0
; MemoryBound: 0
; FloatMode: 240
; IeeeMode: 1
; LDSByteSize: 0 bytes/workgroup (compile time only)
; SGPRBlocks: 1
; VGPRBlocks: 2
; NumSGPRsForWavesPerEU: 12
; NumVGPRsForWavesPerEU: 21
; AccumOffset: 24
; Occupancy: 8
; WaveLimiterHint : 0
; COMPUTE_PGM_RSRC2:SCRATCH_EN: 0
; COMPUTE_PGM_RSRC2:USER_SGPR: 6
; COMPUTE_PGM_RSRC2:TRAP_HANDLER: 0
; COMPUTE_PGM_RSRC2:TGID_X_EN: 1
; COMPUTE_PGM_RSRC2:TGID_Y_EN: 0
; COMPUTE_PGM_RSRC2:TGID_Z_EN: 0
; COMPUTE_PGM_RSRC2:TIDIG_COMP_CNT: 0
; COMPUTE_PGM_RSRC3_GFX90A:ACCUM_OFFSET: 5
; COMPUTE_PGM_RSRC3_GFX90A:TG_SPLIT: 0
	.section	.text._ZL24dequantize_block_iq3_xxsIfEvPKvPT_,"axG",@progbits,_ZL24dequantize_block_iq3_xxsIfEvPKvPT_,comdat
	.globl	_ZL24dequantize_block_iq3_xxsIfEvPKvPT_ ; -- Begin function _ZL24dequantize_block_iq3_xxsIfEvPKvPT_
	.p2align	8
	.type	_ZL24dequantize_block_iq3_xxsIfEvPKvPT_,@function
_ZL24dequantize_block_iq3_xxsIfEvPKvPT_: ; @_ZL24dequantize_block_iq3_xxsIfEvPKvPT_
; %bb.0:
	s_load_dwordx4 s[0:3], s[4:5], 0x0
	s_mov_b32 s7, 0
	s_lshl_b64 s[4:5], s[6:7], 10
	v_and_b32_e32 v4, 7, v0
	v_lshlrev_b32_e32 v2, 3, v4
	s_waitcnt lgkmcnt(0)
	s_add_u32 s4, s2, s4
	s_addc_u32 s5, s3, s5
	s_mul_i32 s3, s6, 0x62
	s_mul_hi_u32 s2, s6, 0x62
	s_add_u32 s0, s0, s3
	s_addc_u32 s1, s1, s2
	v_lshrrev_b32_e32 v1, 3, v0
	v_mov_b32_e32 v3, s1
	v_add_co_u32_e32 v5, vcc, s0, v2
	v_addc_co_u32_e32 v6, vcc, 0, v3, vcc
	v_lshlrev_b32_e32 v2, 1, v1
	v_add_co_u32_e32 v2, vcc, v5, v2
	v_lshlrev_b32_e32 v7, 2, v4
	v_addc_co_u32_e32 v3, vcc, 0, v6, vcc
	global_load_ushort v8, v[2:3], off offset:2
	v_sub_co_u32_e32 v2, vcc, v5, v7
	v_subbrev_co_u32_e32 v3, vcc, 0, v6, vcc
	global_load_dword v2, v[2:3], off offset:66
	v_mov_b32_e32 v3, 0
	global_load_ushort v3, v3, s[0:1]
	v_mov_b32_e32 v5, 2
	s_getpc_b64 s[0:1]
	s_add_u32 s0, s0, _ZL11iq3xxs_grid@rel32@lo+4
	s_addc_u32 s1, s1, _ZL11iq3xxs_grid@rel32@hi+12
	v_mul_u32_u24_e32 v1, 7, v1
	s_getpc_b64 s[2:3]
	s_add_u32 s2, s2, _ZL12ksigns_iq2xs@rel32@lo+4
	s_addc_u32 s3, s3, _ZL12ksigns_iq2xs@rel32@hi+12
	v_lshlrev_b32_e32 v4, 7, v4
	v_and_b32_e32 v0, 0x3f8, v0
	v_add_co_u32_e32 v4, vcc, s4, v4
	v_lshlrev_b32_e32 v0, 2, v0
	s_waitcnt vmcnt(2)
	v_lshlrev_b32_sdwa v6, v5, v8 dst_sel:DWORD dst_unused:UNUSED_PAD src0_sel:DWORD src1_sel:BYTE_0
	v_lshlrev_b32_sdwa v5, v5, v8 dst_sel:DWORD dst_unused:UNUSED_PAD src0_sel:DWORD src1_sel:BYTE_1
	s_waitcnt vmcnt(1)
	v_bfe_u32 v7, v2, v1, 7
	global_load_dword v1, v6, s[0:1]
	global_load_sbyte v10, v7, s[2:3]
	global_load_dword v11, v5, s[0:1]
	v_mov_b32_e32 v5, s5
	v_addc_co_u32_e32 v5, vcc, 0, v5, vcc
	v_add_co_u32_e32 v8, vcc, v4, v0
	s_waitcnt vmcnt(3)
	v_cvt_f32_f16_e32 v0, v3
	v_lshrrev_b32_e32 v2, 28, v2
	v_cvt_f32_ubyte0_e32 v2, v2
	v_add_f32_e32 v2, 0.5, v2
	v_mul_f32_e32 v0, v2, v0
	v_addc_co_u32_e32 v9, vcc, 0, v5, vcc
	v_mul_f32_e32 v0, 0.5, v0
	s_waitcnt vmcnt(2)
	v_cvt_f32_ubyte0_e32 v2, v1
	s_waitcnt vmcnt(1)
	v_and_b32_e32 v3, 1, v10
	s_waitcnt vmcnt(0)
	v_cvt_f32_ubyte0_e32 v4, v11
	v_and_b32_e32 v5, 16, v10
	v_cvt_f32_ubyte1_e32 v6, v1
	v_cvt_f32_ubyte1_e32 v13, v11
	v_cvt_f32_ubyte2_e32 v15, v1
	v_cvt_f32_ubyte2_e32 v17, v11
	v_cvt_f32_ubyte3_e32 v1, v1
	v_cvt_f32_ubyte3_e32 v11, v11
	v_mul_f32_e32 v2, v0, v2
	v_cmp_eq_u16_e32 vcc, 0, v3
	v_and_b32_e32 v12, 2, v10
	v_mul_f32_e32 v4, v0, v4
	v_mul_f32_e32 v6, v0, v6
	;; [unrolled: 1-line block ×7, first 2 shown]
	v_cndmask_b32_e64 v0, -v2, v2, vcc
	v_cmp_eq_u16_e32 vcc, 0, v5
	v_and_b32_e32 v14, 32, v10
	v_cndmask_b32_e64 v4, -v4, v4, vcc
	v_cmp_eq_u16_e32 vcc, 0, v12
	v_and_b32_e32 v16, 4, v10
	v_cndmask_b32_e64 v1, -v6, v6, vcc
	v_cmp_eq_u16_e32 vcc, 0, v14
	v_cndmask_b32_e64 v5, -v13, v13, vcc
	v_cmp_eq_u16_e32 vcc, 0, v16
	v_and_b32_e32 v18, 8, v10
	v_cndmask_b32_e64 v2, -v15, v15, vcc
	v_cmp_gt_u32_e32 vcc, 64, v7
	v_cndmask_b32_e64 v6, -v17, v17, vcc
	v_cmp_eq_u16_e32 vcc, 0, v18
	v_cndmask_b32_e64 v3, -v19, v19, vcc
	v_cmp_gt_i16_e32 vcc, 0, v10
	v_cndmask_b32_e64 v7, v11, -v11, vcc
	global_store_dwordx4 v[8:9], v[0:3], off
	global_store_dwordx4 v[8:9], v[4:7], off offset:16
	s_endpgm
	.section	.rodata,"a",@progbits
	.p2align	6, 0x0
	.amdhsa_kernel _ZL24dequantize_block_iq3_xxsIfEvPKvPT_
		.amdhsa_group_segment_fixed_size 0
		.amdhsa_private_segment_fixed_size 0
		.amdhsa_kernarg_size 16
		.amdhsa_user_sgpr_count 6
		.amdhsa_user_sgpr_private_segment_buffer 1
		.amdhsa_user_sgpr_dispatch_ptr 0
		.amdhsa_user_sgpr_queue_ptr 0
		.amdhsa_user_sgpr_kernarg_segment_ptr 1
		.amdhsa_user_sgpr_dispatch_id 0
		.amdhsa_user_sgpr_flat_scratch_init 0
		.amdhsa_user_sgpr_kernarg_preload_length 0
		.amdhsa_user_sgpr_kernarg_preload_offset 0
		.amdhsa_user_sgpr_private_segment_size 0
		.amdhsa_uses_dynamic_stack 0
		.amdhsa_system_sgpr_private_segment_wavefront_offset 0
		.amdhsa_system_sgpr_workgroup_id_x 1
		.amdhsa_system_sgpr_workgroup_id_y 0
		.amdhsa_system_sgpr_workgroup_id_z 0
		.amdhsa_system_sgpr_workgroup_info 0
		.amdhsa_system_vgpr_workitem_id 0
		.amdhsa_next_free_vgpr 20
		.amdhsa_next_free_sgpr 8
		.amdhsa_accum_offset 20
		.amdhsa_reserve_vcc 1
		.amdhsa_reserve_flat_scratch 0
		.amdhsa_float_round_mode_32 0
		.amdhsa_float_round_mode_16_64 0
		.amdhsa_float_denorm_mode_32 3
		.amdhsa_float_denorm_mode_16_64 3
		.amdhsa_dx10_clamp 1
		.amdhsa_ieee_mode 1
		.amdhsa_fp16_overflow 0
		.amdhsa_tg_split 0
		.amdhsa_exception_fp_ieee_invalid_op 0
		.amdhsa_exception_fp_denorm_src 0
		.amdhsa_exception_fp_ieee_div_zero 0
		.amdhsa_exception_fp_ieee_overflow 0
		.amdhsa_exception_fp_ieee_underflow 0
		.amdhsa_exception_fp_ieee_inexact 0
		.amdhsa_exception_int_div_zero 0
	.end_amdhsa_kernel
	.section	.text._ZL24dequantize_block_iq3_xxsIfEvPKvPT_,"axG",@progbits,_ZL24dequantize_block_iq3_xxsIfEvPKvPT_,comdat
.Lfunc_end30:
	.size	_ZL24dequantize_block_iq3_xxsIfEvPKvPT_, .Lfunc_end30-_ZL24dequantize_block_iq3_xxsIfEvPKvPT_
                                        ; -- End function
	.section	.AMDGPU.csdata,"",@progbits
; Kernel info:
; codeLenInByte = 512
; NumSgprs: 12
; NumVgprs: 20
; NumAgprs: 0
; TotalNumVgprs: 20
; ScratchSize: 0
; MemoryBound: 0
; FloatMode: 240
; IeeeMode: 1
; LDSByteSize: 0 bytes/workgroup (compile time only)
; SGPRBlocks: 1
; VGPRBlocks: 2
; NumSGPRsForWavesPerEU: 12
; NumVGPRsForWavesPerEU: 20
; AccumOffset: 20
; Occupancy: 8
; WaveLimiterHint : 0
; COMPUTE_PGM_RSRC2:SCRATCH_EN: 0
; COMPUTE_PGM_RSRC2:USER_SGPR: 6
; COMPUTE_PGM_RSRC2:TRAP_HANDLER: 0
; COMPUTE_PGM_RSRC2:TGID_X_EN: 1
; COMPUTE_PGM_RSRC2:TGID_Y_EN: 0
; COMPUTE_PGM_RSRC2:TGID_Z_EN: 0
; COMPUTE_PGM_RSRC2:TIDIG_COMP_CNT: 0
; COMPUTE_PGM_RSRC3_GFX90A:ACCUM_OFFSET: 4
; COMPUTE_PGM_RSRC3_GFX90A:TG_SPLIT: 0
	.section	.text._ZL22dequantize_block_iq1_sIfEvPKvPT_,"axG",@progbits,_ZL22dequantize_block_iq1_sIfEvPKvPT_,comdat
	.globl	_ZL22dequantize_block_iq1_sIfEvPKvPT_ ; -- Begin function _ZL22dequantize_block_iq1_sIfEvPKvPT_
	.p2align	8
	.type	_ZL22dequantize_block_iq1_sIfEvPKvPT_,@function
_ZL22dequantize_block_iq1_sIfEvPKvPT_:  ; @_ZL22dequantize_block_iq1_sIfEvPKvPT_
; %bb.0:
	s_load_dwordx4 s[0:3], s[4:5], 0x0
	s_mov_b32 s7, 0
	s_lshl_b64 s[4:5], s[6:7], 10
	v_and_b32_e32 v4, 7, v0
	v_lshlrev_b32_e32 v2, 1, v4
	s_waitcnt lgkmcnt(0)
	s_add_u32 s4, s2, s4
	s_addc_u32 s5, s3, s5
	s_mul_i32 s3, s6, 50
	s_mul_hi_u32 s2, s6, 50
	s_add_u32 s0, s0, s3
	s_addc_u32 s1, s1, s2
	v_lshrrev_b32_e32 v1, 3, v0
	global_load_ushort v5, v2, s[0:1] offset:34
	v_lshlrev_b32_e32 v2, 2, v4
	v_add_co_u32_e32 v2, vcc, v2, v1
	v_addc_co_u32_e64 v3, s[2:3], 0, 0, vcc
	v_mov_b32_e32 v6, s1
	v_add_co_u32_e32 v2, vcc, s0, v2
	v_addc_co_u32_e32 v3, vcc, v6, v3, vcc
	global_load_ubyte v2, v[2:3], off offset:2
	v_mov_b32_e32 v3, 0
	v_mul_u32_u24_e32 v1, 3, v1
	global_load_ushort v3, v3, s[0:1]
	s_movk_i32 s6, 0x700
	s_getpc_b64 s[2:3]
	s_add_u32 s2, s2, _ZL13iq1s_grid_gpu@rel32@lo+4
	s_addc_u32 s3, s3, _ZL13iq1s_grid_gpu@rel32@hi+12
	v_lshlrev_b32_e32 v4, 7, v4
	v_and_b32_e32 v0, 0x3f8, v0
	v_mov_b32_e32 v7, s5
	v_add_co_u32_e32 v4, vcc, s4, v4
	v_lshlrev_b32_e32 v0, 2, v0
	v_addc_co_u32_e32 v7, vcc, 0, v7, vcc
	v_add_co_u32_e32 v8, vcc, v4, v0
	v_addc_co_u32_e32 v9, vcc, 0, v7, vcc
	v_mov_b32_e32 v6, 0xbf600000
	s_waitcnt vmcnt(2)
	v_lshrrev_b32_sdwa v1, v1, v5 dst_sel:DWORD dst_unused:UNUSED_PAD src0_sel:DWORD src1_sel:WORD_0
	v_lshlrev_b32_e32 v1, 8, v1
	v_cmp_lt_i16_e32 vcc, -1, v5
	s_waitcnt vmcnt(1)
	v_and_or_b32 v1, v1, s6, v2
	v_lshlrev_b32_e32 v1, 2, v1
	global_load_dword v1, v1, s[2:3]
	v_mov_b32_e32 v2, 0xbf900000
	v_cndmask_b32_e32 v0, v2, v6, vcc
	v_lshrrev_b16_e32 v2, 11, v5
	s_waitcnt vmcnt(1)
	v_cvt_f32_f16_e32 v3, v3
	v_and_b32_e32 v2, 14, v2
	v_or_b32_e32 v2, 1, v2
	v_cvt_f32_ubyte0_e32 v2, v2
	v_mul_f32_e32 v6, v3, v2
	s_waitcnt vmcnt(0)
	v_and_b32_e32 v4, 0xf0f0f0f, v1
	v_bfe_u32 v2, v1, 8, 4
	v_and_b32_e32 v5, 15, v1
	v_bfe_u32 v7, v1, 16, 4
	v_bfe_u32 v10, v1, 12, 4
	;; [unrolled: 1-line block ×3, first 2 shown]
	v_lshrrev_b32_e32 v13, 28, v1
	v_bfe_u32 v1, v1, 20, 4
	v_cvt_f32_ubyte0_e32 v3, v2
	v_cvt_f32_ubyte0_e32 v2, v5
	v_cvt_f32_ubyte3_e32 v5, v4
	v_cvt_f32_ubyte0_e32 v4, v7
	v_cvt_f32_ubyte0_e32 v11, v10
	;; [unrolled: 1-line block ×5, first 2 shown]
	v_pk_add_f32 v[2:3], v[0:1], v[2:3] op_sel_hi:[0,1]
	v_pk_add_f32 v[4:5], v[0:1], v[4:5] op_sel_hi:[0,1]
	;; [unrolled: 1-line block ×4, first 2 shown]
	v_pk_mul_f32 v[0:1], v[6:7], v[2:3] op_sel_hi:[0,1]
	v_pk_mul_f32 v[2:3], v[6:7], v[4:5] op_sel_hi:[0,1]
	;; [unrolled: 1-line block ×4, first 2 shown]
	global_store_dwordx4 v[8:9], v[0:3], off
	global_store_dwordx4 v[8:9], v[4:7], off offset:16
	s_endpgm
	.section	.rodata,"a",@progbits
	.p2align	6, 0x0
	.amdhsa_kernel _ZL22dequantize_block_iq1_sIfEvPKvPT_
		.amdhsa_group_segment_fixed_size 0
		.amdhsa_private_segment_fixed_size 0
		.amdhsa_kernarg_size 16
		.amdhsa_user_sgpr_count 6
		.amdhsa_user_sgpr_private_segment_buffer 1
		.amdhsa_user_sgpr_dispatch_ptr 0
		.amdhsa_user_sgpr_queue_ptr 0
		.amdhsa_user_sgpr_kernarg_segment_ptr 1
		.amdhsa_user_sgpr_dispatch_id 0
		.amdhsa_user_sgpr_flat_scratch_init 0
		.amdhsa_user_sgpr_kernarg_preload_length 0
		.amdhsa_user_sgpr_kernarg_preload_offset 0
		.amdhsa_user_sgpr_private_segment_size 0
		.amdhsa_uses_dynamic_stack 0
		.amdhsa_system_sgpr_private_segment_wavefront_offset 0
		.amdhsa_system_sgpr_workgroup_id_x 1
		.amdhsa_system_sgpr_workgroup_id_y 0
		.amdhsa_system_sgpr_workgroup_id_z 0
		.amdhsa_system_sgpr_workgroup_info 0
		.amdhsa_system_vgpr_workitem_id 0
		.amdhsa_next_free_vgpr 14
		.amdhsa_next_free_sgpr 8
		.amdhsa_accum_offset 16
		.amdhsa_reserve_vcc 1
		.amdhsa_reserve_flat_scratch 0
		.amdhsa_float_round_mode_32 0
		.amdhsa_float_round_mode_16_64 0
		.amdhsa_float_denorm_mode_32 3
		.amdhsa_float_denorm_mode_16_64 3
		.amdhsa_dx10_clamp 1
		.amdhsa_ieee_mode 1
		.amdhsa_fp16_overflow 0
		.amdhsa_tg_split 0
		.amdhsa_exception_fp_ieee_invalid_op 0
		.amdhsa_exception_fp_denorm_src 0
		.amdhsa_exception_fp_ieee_div_zero 0
		.amdhsa_exception_fp_ieee_overflow 0
		.amdhsa_exception_fp_ieee_underflow 0
		.amdhsa_exception_fp_ieee_inexact 0
		.amdhsa_exception_int_div_zero 0
	.end_amdhsa_kernel
	.section	.text._ZL22dequantize_block_iq1_sIfEvPKvPT_,"axG",@progbits,_ZL22dequantize_block_iq1_sIfEvPKvPT_,comdat
.Lfunc_end31:
	.size	_ZL22dequantize_block_iq1_sIfEvPKvPT_, .Lfunc_end31-_ZL22dequantize_block_iq1_sIfEvPKvPT_
                                        ; -- End function
	.section	.AMDGPU.csdata,"",@progbits
; Kernel info:
; codeLenInByte = 444
; NumSgprs: 12
; NumVgprs: 14
; NumAgprs: 0
; TotalNumVgprs: 14
; ScratchSize: 0
; MemoryBound: 0
; FloatMode: 240
; IeeeMode: 1
; LDSByteSize: 0 bytes/workgroup (compile time only)
; SGPRBlocks: 1
; VGPRBlocks: 1
; NumSGPRsForWavesPerEU: 12
; NumVGPRsForWavesPerEU: 14
; AccumOffset: 16
; Occupancy: 8
; WaveLimiterHint : 0
; COMPUTE_PGM_RSRC2:SCRATCH_EN: 0
; COMPUTE_PGM_RSRC2:USER_SGPR: 6
; COMPUTE_PGM_RSRC2:TRAP_HANDLER: 0
; COMPUTE_PGM_RSRC2:TGID_X_EN: 1
; COMPUTE_PGM_RSRC2:TGID_Y_EN: 0
; COMPUTE_PGM_RSRC2:TGID_Z_EN: 0
; COMPUTE_PGM_RSRC2:TIDIG_COMP_CNT: 0
; COMPUTE_PGM_RSRC3_GFX90A:ACCUM_OFFSET: 3
; COMPUTE_PGM_RSRC3_GFX90A:TG_SPLIT: 0
	.section	.text._ZL22dequantize_block_iq1_mIfEvPKvPT_,"axG",@progbits,_ZL22dequantize_block_iq1_mIfEvPKvPT_,comdat
	.globl	_ZL22dequantize_block_iq1_mIfEvPKvPT_ ; -- Begin function _ZL22dequantize_block_iq1_mIfEvPKvPT_
	.p2align	8
	.type	_ZL22dequantize_block_iq1_mIfEvPKvPT_,@function
_ZL22dequantize_block_iq1_mIfEvPKvPT_:  ; @_ZL22dequantize_block_iq1_mIfEvPKvPT_
; %bb.0:
	s_load_dwordx4 s[0:3], s[4:5], 0x0
	s_mov_b32 s7, 0
	s_lshl_b64 s[4:5], s[6:7], 10
	v_and_b32_e32 v4, 7, v0
	v_lshlrev_b32_e32 v2, 1, v4
	s_waitcnt lgkmcnt(0)
	s_add_u32 s4, s2, s4
	s_addc_u32 s5, s3, s5
	s_mul_i32 s3, s6, 56
	s_mul_hi_u32 s2, s6, 56
	s_add_u32 s0, s0, s3
	v_lshrrev_b32_e32 v3, 4, v0
	s_addc_u32 s1, s1, s2
	v_add_co_u32_e32 v5, vcc, v2, v3
	v_addc_co_u32_e64 v3, s[2:3], 0, 0, vcc
	v_mov_b32_e32 v6, s1
	v_add_co_u32_e32 v2, vcc, s0, v5
	v_addc_co_u32_e32 v3, vcc, v6, v3, vcc
	v_lshrrev_b32_e32 v1, 3, v0
	global_load_ubyte v6, v[2:3], off offset:32
	v_lshlrev_b32_e32 v2, 2, v4
	v_add_co_u32_e32 v1, vcc, v2, v1
	v_addc_co_u32_e64 v3, s[2:3], 0, 0, vcc
	v_mov_b32_e32 v7, s1
	v_add_co_u32_e32 v2, vcc, s0, v1
	v_addc_co_u32_e32 v3, vcc, v7, v3, vcc
	global_load_ubyte v1, v[2:3], off
	v_mov_b32_e32 v2, 0
	global_load_dwordx2 v[2:3], v2, s[0:1] offset:48
	v_lshrrev_b32_e32 v7, 1, v5
	v_lshrrev_b32_e32 v8, 1, v0
	v_and_b32_e32 v7, 62, v7
	global_load_ushort v7, v7, s[0:1] offset:48
	v_and_b32_e32 v8, 4, v8
	s_movk_i32 s2, 0x700
	s_getpc_b64 s[0:1]
	s_add_u32 s0, s0, _ZL13iq1s_grid_gpu@rel32@lo+4
	s_addc_u32 s1, s1, _ZL13iq1s_grid_gpu@rel32@hi+12
	v_lshlrev_b32_e32 v4, 7, v4
	v_and_b32_e32 v0, 0x3f8, v0
	v_add_co_u32_e32 v4, vcc, s4, v4
	v_mov_b32_e32 v10, 0xffff
	v_lshlrev_b32_e32 v0, 2, v0
	v_and_b32_e32 v5, 3, v5
	v_mul_u32_u24_e32 v5, 3, v5
	v_mov_b32_e32 v11, 0xbf900000
	v_mov_b32_e32 v12, 0xbf600000
	s_waitcnt vmcnt(3)
	v_lshrrev_b32_e32 v6, v8, v6
	v_lshlrev_b32_e32 v8, 8, v6
	s_waitcnt vmcnt(2)
	v_and_or_b32 v1, v8, s2, v1
	v_lshlrev_b32_e32 v1, 2, v1
	global_load_dword v1, v1, s[0:1]
	v_mov_b32_e32 v8, s5
	v_addc_co_u32_e32 v9, vcc, 0, v8, vcc
	v_add_co_u32_e32 v8, vcc, v4, v0
	s_waitcnt vmcnt(2)
	v_and_b32_sdwa v0, v10, v2 dst_sel:DWORD dst_unused:UNUSED_PAD src0_sel:DWORD src1_sel:WORD_1
	s_mov_b32 s0, 0x40008
	v_lshl_or_b32 v0, v3, 16, v0
	v_pk_lshrrev_b16 v0, s0, v0
	v_bfe_u32 v2, v2, 12, 4
	v_and_b32_e32 v0, 0xf0000f0, v0
	s_mov_b32 s1, 0xf000
	v_or_b32_e32 v2, v0, v2
	v_and_b32_sdwa v4, v3, s1 dst_sel:DWORD dst_unused:UNUSED_PAD src0_sel:WORD_1 src1_sel:DWORD
	v_or_b32_sdwa v0, v2, v0 dst_sel:DWORD dst_unused:UNUSED_PAD src0_sel:DWORD src1_sel:WORD_1
	v_or_b32_e32 v0, v0, v4
	s_waitcnt vmcnt(1)
	v_lshrrev_b32_e32 v5, v5, v7
	v_cvt_f32_f16_e32 v2, v0
	v_lshlrev_b32_e32 v3, 1, v5
	v_and_or_b32 v3, v3, 14, 1
	v_addc_co_u32_e32 v9, vcc, 0, v9, vcc
	v_cvt_f32_ubyte0_e32 v3, v3
	v_and_b32_e32 v0, 8, v6
	v_cmp_eq_u32_e32 vcc, 0, v0
	v_mul_f32_e32 v6, v2, v3
	v_cndmask_b32_e32 v0, v11, v12, vcc
	s_waitcnt vmcnt(0)
	v_and_b32_e32 v4, 0xf0f0f0f, v1
	v_bfe_u32 v2, v1, 8, 4
	v_and_b32_e32 v5, 15, v1
	v_bfe_u32 v7, v1, 16, 4
	v_bfe_u32 v10, v1, 12, 4
	;; [unrolled: 1-line block ×3, first 2 shown]
	v_lshrrev_b32_e32 v13, 28, v1
	v_bfe_u32 v1, v1, 20, 4
	v_cvt_f32_ubyte0_e32 v3, v2
	v_cvt_f32_ubyte0_e32 v2, v5
	v_cvt_f32_ubyte3_e32 v5, v4
	v_cvt_f32_ubyte0_e32 v4, v7
	v_cvt_f32_ubyte0_e32 v11, v10
	;; [unrolled: 1-line block ×5, first 2 shown]
	v_pk_add_f32 v[2:3], v[0:1], v[2:3] op_sel_hi:[0,1]
	v_pk_add_f32 v[4:5], v[0:1], v[4:5] op_sel_hi:[0,1]
	;; [unrolled: 1-line block ×4, first 2 shown]
	v_pk_mul_f32 v[0:1], v[6:7], v[2:3] op_sel_hi:[0,1]
	v_pk_mul_f32 v[2:3], v[6:7], v[4:5] op_sel_hi:[0,1]
	;; [unrolled: 1-line block ×4, first 2 shown]
	global_store_dwordx4 v[8:9], v[0:3], off
	global_store_dwordx4 v[8:9], v[4:7], off offset:16
	s_endpgm
	.section	.rodata,"a",@progbits
	.p2align	6, 0x0
	.amdhsa_kernel _ZL22dequantize_block_iq1_mIfEvPKvPT_
		.amdhsa_group_segment_fixed_size 0
		.amdhsa_private_segment_fixed_size 0
		.amdhsa_kernarg_size 16
		.amdhsa_user_sgpr_count 6
		.amdhsa_user_sgpr_private_segment_buffer 1
		.amdhsa_user_sgpr_dispatch_ptr 0
		.amdhsa_user_sgpr_queue_ptr 0
		.amdhsa_user_sgpr_kernarg_segment_ptr 1
		.amdhsa_user_sgpr_dispatch_id 0
		.amdhsa_user_sgpr_flat_scratch_init 0
		.amdhsa_user_sgpr_kernarg_preload_length 0
		.amdhsa_user_sgpr_kernarg_preload_offset 0
		.amdhsa_user_sgpr_private_segment_size 0
		.amdhsa_uses_dynamic_stack 0
		.amdhsa_system_sgpr_private_segment_wavefront_offset 0
		.amdhsa_system_sgpr_workgroup_id_x 1
		.amdhsa_system_sgpr_workgroup_id_y 0
		.amdhsa_system_sgpr_workgroup_id_z 0
		.amdhsa_system_sgpr_workgroup_info 0
		.amdhsa_system_vgpr_workitem_id 0
		.amdhsa_next_free_vgpr 14
		.amdhsa_next_free_sgpr 8
		.amdhsa_accum_offset 16
		.amdhsa_reserve_vcc 1
		.amdhsa_reserve_flat_scratch 0
		.amdhsa_float_round_mode_32 0
		.amdhsa_float_round_mode_16_64 0
		.amdhsa_float_denorm_mode_32 3
		.amdhsa_float_denorm_mode_16_64 3
		.amdhsa_dx10_clamp 1
		.amdhsa_ieee_mode 1
		.amdhsa_fp16_overflow 0
		.amdhsa_tg_split 0
		.amdhsa_exception_fp_ieee_invalid_op 0
		.amdhsa_exception_fp_denorm_src 0
		.amdhsa_exception_fp_ieee_div_zero 0
		.amdhsa_exception_fp_ieee_overflow 0
		.amdhsa_exception_fp_ieee_underflow 0
		.amdhsa_exception_fp_ieee_inexact 0
		.amdhsa_exception_int_div_zero 0
	.end_amdhsa_kernel
	.section	.text._ZL22dequantize_block_iq1_mIfEvPKvPT_,"axG",@progbits,_ZL22dequantize_block_iq1_mIfEvPKvPT_,comdat
.Lfunc_end32:
	.size	_ZL22dequantize_block_iq1_mIfEvPKvPT_, .Lfunc_end32-_ZL22dequantize_block_iq1_mIfEvPKvPT_
                                        ; -- End function
	.section	.AMDGPU.csdata,"",@progbits
; Kernel info:
; codeLenInByte = 596
; NumSgprs: 12
; NumVgprs: 14
; NumAgprs: 0
; TotalNumVgprs: 14
; ScratchSize: 0
; MemoryBound: 0
; FloatMode: 240
; IeeeMode: 1
; LDSByteSize: 0 bytes/workgroup (compile time only)
; SGPRBlocks: 1
; VGPRBlocks: 1
; NumSGPRsForWavesPerEU: 12
; NumVGPRsForWavesPerEU: 14
; AccumOffset: 16
; Occupancy: 8
; WaveLimiterHint : 0
; COMPUTE_PGM_RSRC2:SCRATCH_EN: 0
; COMPUTE_PGM_RSRC2:USER_SGPR: 6
; COMPUTE_PGM_RSRC2:TRAP_HANDLER: 0
; COMPUTE_PGM_RSRC2:TGID_X_EN: 1
; COMPUTE_PGM_RSRC2:TGID_Y_EN: 0
; COMPUTE_PGM_RSRC2:TGID_Z_EN: 0
; COMPUTE_PGM_RSRC2:TIDIG_COMP_CNT: 0
; COMPUTE_PGM_RSRC3_GFX90A:ACCUM_OFFSET: 3
; COMPUTE_PGM_RSRC3_GFX90A:TG_SPLIT: 0
	.section	.text._ZL23dequantize_block_iq4_nlIfEvPKvPT_,"axG",@progbits,_ZL23dequantize_block_iq4_nlIfEvPKvPT_,comdat
	.globl	_ZL23dequantize_block_iq4_nlIfEvPKvPT_ ; -- Begin function _ZL23dequantize_block_iq4_nlIfEvPKvPT_
	.p2align	8
	.type	_ZL23dequantize_block_iq4_nlIfEvPKvPT_,@function
_ZL23dequantize_block_iq4_nlIfEvPKvPT_: ; @_ZL23dequantize_block_iq4_nlIfEvPKvPT_
; %bb.0:
	s_load_dwordx4 s[0:3], s[4:5], 0x0
	s_mul_i32 s5, s6, 0x90
	s_mul_hi_u32 s4, s6, 0x90
	v_and_b32_e32 v4, 7, v0
	v_lshrrev_b32_e32 v0, 1, v0
	s_waitcnt lgkmcnt(0)
	s_add_u32 s0, s0, s5
	s_addc_u32 s1, s1, s4
	v_and_b32_e32 v5, 0x1fc, v0
	v_mad_u64_u32 v[0:1], s[0:1], v4, 18, s[0:1]
	v_add_co_u32_e32 v2, vcc, v0, v5
	v_addc_co_u32_e32 v3, vcc, 0, v1, vcc
	global_load_dword v6, v[2:3], off offset:2
	global_load_ushort v7, v[0:1], off
	s_mov_b32 s7, 0
	s_lshl_b64 s[0:1], s[6:7], 10
	s_add_u32 s2, s2, s0
	v_mov_b32_e32 v0, 4
	s_addc_u32 s3, s3, s1
	s_getpc_b64 s[0:1]
	s_add_u32 s0, s0, _ZL13kvalues_iq4nl@rel32@lo+4
	s_addc_u32 s1, s1, _ZL13kvalues_iq4nl@rel32@hi+12
	v_mov_b32_e32 v8, s1
	s_waitcnt vmcnt(1)
	v_lshrrev_b16_e32 v2, 4, v6
	v_lshrrev_b16_sdwa v0, v0, v6 dst_sel:DWORD dst_unused:UNUSED_PAD src0_sel:DWORD src1_sel:BYTE_3
	v_lshrrev_b32_e32 v1, 8, v6
	v_and_b32_e32 v2, 15, v2
	v_add_co_u32_e32 v0, vcc, s0, v0
	v_lshrrev_b16_e32 v3, 4, v1
	v_addc_co_u32_e32 v1, vcc, 0, v8, vcc
	v_and_b32_e32 v2, 0xffff, v2
	v_and_b32_e32 v9, 15, v6
	v_bfe_u32 v10, v6, 8, 4
	v_bfe_u32 v11, v6, 16, 4
	;; [unrolled: 1-line block ×4, first 2 shown]
	v_and_b32_e32 v6, 15, v3
	v_add_co_u32_e32 v2, vcc, s0, v2
	v_addc_co_u32_e32 v3, vcc, 0, v8, vcc
	v_and_b32_e32 v6, 0xffff, v6
	global_load_sbyte v14, v9, s[0:1]
	global_load_sbyte v15, v[2:3], off
	global_load_sbyte v16, v10, s[0:1]
	global_load_sbyte v17, v11, s[0:1]
	;; [unrolled: 1-line block ×4, first 2 shown]
	v_add_co_u32_e32 v2, vcc, s0, v6
	v_addc_co_u32_e32 v3, vcc, 0, v8, vcc
	global_load_sbyte v11, v[0:1], off
	global_load_sbyte v12, v[2:3], off
	v_lshlrev_b32_e32 v0, 7, v4
	v_mov_b32_e32 v2, s3
	v_add_co_u32_e32 v0, vcc, s2, v0
	v_lshlrev_b32_e32 v1, 2, v5
	v_addc_co_u32_e32 v2, vcc, 0, v2, vcc
	v_add_co_u32_e32 v8, vcc, v0, v1
	v_addc_co_u32_e32 v9, vcc, 0, v2, vcc
	s_waitcnt vmcnt(8)
	v_cvt_f32_f16_e32 v4, v7
	s_waitcnt vmcnt(7)
	v_cvt_f32_i32_e32 v0, v14
	s_waitcnt vmcnt(6)
	v_cvt_f32_i32_e32 v10, v15
	;; [unrolled: 2-line block ×6, first 2 shown]
	v_pk_mul_f32 v[0:1], v[4:5], v[0:1] op_sel_hi:[0,1]
	s_waitcnt vmcnt(1)
	v_cvt_f32_i32_e32 v7, v11
	s_waitcnt vmcnt(0)
	v_cvt_f32_i32_e32 v11, v12
	v_pk_mul_f32 v[2:3], v[4:5], v[2:3] op_sel_hi:[0,1]
	v_pk_mul_f32 v[6:7], v[4:5], v[6:7] op_sel_hi:[0,1]
	;; [unrolled: 1-line block ×3, first 2 shown]
	global_store_dwordx4 v[8:9], v[0:3], off
	global_store_dwordx4 v[8:9], v[4:7], off offset:64
	s_endpgm
	.section	.rodata,"a",@progbits
	.p2align	6, 0x0
	.amdhsa_kernel _ZL23dequantize_block_iq4_nlIfEvPKvPT_
		.amdhsa_group_segment_fixed_size 0
		.amdhsa_private_segment_fixed_size 0
		.amdhsa_kernarg_size 16
		.amdhsa_user_sgpr_count 6
		.amdhsa_user_sgpr_private_segment_buffer 1
		.amdhsa_user_sgpr_dispatch_ptr 0
		.amdhsa_user_sgpr_queue_ptr 0
		.amdhsa_user_sgpr_kernarg_segment_ptr 1
		.amdhsa_user_sgpr_dispatch_id 0
		.amdhsa_user_sgpr_flat_scratch_init 0
		.amdhsa_user_sgpr_kernarg_preload_length 0
		.amdhsa_user_sgpr_kernarg_preload_offset 0
		.amdhsa_user_sgpr_private_segment_size 0
		.amdhsa_uses_dynamic_stack 0
		.amdhsa_system_sgpr_private_segment_wavefront_offset 0
		.amdhsa_system_sgpr_workgroup_id_x 1
		.amdhsa_system_sgpr_workgroup_id_y 0
		.amdhsa_system_sgpr_workgroup_id_z 0
		.amdhsa_system_sgpr_workgroup_info 0
		.amdhsa_system_vgpr_workitem_id 0
		.amdhsa_next_free_vgpr 20
		.amdhsa_next_free_sgpr 8
		.amdhsa_accum_offset 20
		.amdhsa_reserve_vcc 1
		.amdhsa_reserve_flat_scratch 0
		.amdhsa_float_round_mode_32 0
		.amdhsa_float_round_mode_16_64 0
		.amdhsa_float_denorm_mode_32 3
		.amdhsa_float_denorm_mode_16_64 3
		.amdhsa_dx10_clamp 1
		.amdhsa_ieee_mode 1
		.amdhsa_fp16_overflow 0
		.amdhsa_tg_split 0
		.amdhsa_exception_fp_ieee_invalid_op 0
		.amdhsa_exception_fp_denorm_src 0
		.amdhsa_exception_fp_ieee_div_zero 0
		.amdhsa_exception_fp_ieee_overflow 0
		.amdhsa_exception_fp_ieee_underflow 0
		.amdhsa_exception_fp_ieee_inexact 0
		.amdhsa_exception_int_div_zero 0
	.end_amdhsa_kernel
	.section	.text._ZL23dequantize_block_iq4_nlIfEvPKvPT_,"axG",@progbits,_ZL23dequantize_block_iq4_nlIfEvPKvPT_,comdat
.Lfunc_end33:
	.size	_ZL23dequantize_block_iq4_nlIfEvPKvPT_, .Lfunc_end33-_ZL23dequantize_block_iq4_nlIfEvPKvPT_
                                        ; -- End function
	.section	.AMDGPU.csdata,"",@progbits
; Kernel info:
; codeLenInByte = 452
; NumSgprs: 12
; NumVgprs: 20
; NumAgprs: 0
; TotalNumVgprs: 20
; ScratchSize: 0
; MemoryBound: 0
; FloatMode: 240
; IeeeMode: 1
; LDSByteSize: 0 bytes/workgroup (compile time only)
; SGPRBlocks: 1
; VGPRBlocks: 2
; NumSGPRsForWavesPerEU: 12
; NumVGPRsForWavesPerEU: 20
; AccumOffset: 20
; Occupancy: 8
; WaveLimiterHint : 0
; COMPUTE_PGM_RSRC2:SCRATCH_EN: 0
; COMPUTE_PGM_RSRC2:USER_SGPR: 6
; COMPUTE_PGM_RSRC2:TRAP_HANDLER: 0
; COMPUTE_PGM_RSRC2:TGID_X_EN: 1
; COMPUTE_PGM_RSRC2:TGID_Y_EN: 0
; COMPUTE_PGM_RSRC2:TGID_Z_EN: 0
; COMPUTE_PGM_RSRC2:TIDIG_COMP_CNT: 0
; COMPUTE_PGM_RSRC3_GFX90A:ACCUM_OFFSET: 4
; COMPUTE_PGM_RSRC3_GFX90A:TG_SPLIT: 0
	.section	.text._ZL23dequantize_block_iq4_xsIfEvPKvPT_,"axG",@progbits,_ZL23dequantize_block_iq4_xsIfEvPKvPT_,comdat
	.globl	_ZL23dequantize_block_iq4_xsIfEvPKvPT_ ; -- Begin function _ZL23dequantize_block_iq4_xsIfEvPKvPT_
	.p2align	8
	.type	_ZL23dequantize_block_iq4_xsIfEvPKvPT_,@function
_ZL23dequantize_block_iq4_xsIfEvPKvPT_: ; @_ZL23dequantize_block_iq4_xsIfEvPKvPT_
; %bb.0:
	s_load_dwordx4 s[0:3], s[4:5], 0x0
	s_mov_b32 s7, 0
	s_lshl_b64 s[4:5], s[6:7], 10
	v_and_b32_e32 v1, 7, v0
	v_lshrrev_b32_e32 v2, 1, v0
	s_waitcnt lgkmcnt(0)
	s_add_u32 s2, s2, s4
	s_addc_u32 s3, s3, s5
	s_mul_i32 s5, s6, 0x88
	s_mul_hi_u32 s4, s6, 0x88
	s_add_u32 s0, s0, s5
	v_and_b32_e32 v6, 0x1fc, v2
	s_addc_u32 s1, s1, s4
	v_lshlrev_b32_e32 v2, 4, v1
	v_mov_b32_e32 v3, s1
	v_add_co_u32_e32 v2, vcc, s0, v2
	v_addc_co_u32_e32 v3, vcc, 0, v3, vcc
	v_add_co_u32_e32 v2, vcc, v2, v6
	v_addc_co_u32_e32 v3, vcc, 0, v3, vcc
	global_load_dword v2, v[2:3], off offset:8
	v_mov_b32_e32 v3, 0
	global_load_dword v7, v3, s[0:1]
	v_bfe_u32 v3, v0, 1, 2
	global_load_ubyte v8, v3, s[0:1] offset:4
	v_mov_b32_e32 v3, 4
	s_getpc_b64 s[0:1]
	s_add_u32 s0, s0, _ZL13kvalues_iq4nl@rel32@lo+4
	s_addc_u32 s1, s1, _ZL13kvalues_iq4nl@rel32@hi+12
	v_mov_b32_e32 v9, s1
	v_lshlrev_b32_e32 v0, 2, v0
	v_and_b32_e32 v0, 4, v0
	s_waitcnt vmcnt(2)
	v_lshrrev_b32_e32 v4, 8, v2
	v_and_b32_e32 v10, 15, v2
	v_lshrrev_b16_e32 v5, 4, v2
	v_bfe_u32 v11, v2, 8, 4
	v_bfe_u32 v12, v2, 16, 4
	;; [unrolled: 1-line block ×4, first 2 shown]
	v_lshrrev_b16_sdwa v2, v3, v2 dst_sel:DWORD dst_unused:UNUSED_PAD src0_sel:DWORD src1_sel:BYTE_3
	v_and_b32_e32 v5, 15, v5
	v_add_co_u32_e32 v2, vcc, s0, v2
	v_lshrrev_b16_e32 v4, 4, v4
	v_addc_co_u32_e32 v3, vcc, 0, v9, vcc
	v_and_b32_e32 v5, 0xffff, v5
	v_and_b32_e32 v15, 15, v4
	v_add_co_u32_e32 v4, vcc, s0, v5
	v_addc_co_u32_e32 v5, vcc, 0, v9, vcc
	v_and_b32_e32 v15, 0xffff, v15
	global_load_sbyte v16, v10, s[0:1]
	global_load_sbyte v17, v[4:5], off
	global_load_sbyte v18, v11, s[0:1]
	global_load_sbyte v19, v12, s[0:1]
	;; [unrolled: 1-line block ×4, first 2 shown]
	v_add_co_u32_e32 v4, vcc, s0, v15
	v_addc_co_u32_e32 v5, vcc, 0, v9, vcc
	global_load_sbyte v11, v[2:3], off
	global_load_sbyte v12, v[4:5], off
	v_lshlrev_b32_e32 v2, 7, v1
	v_lshlrev_b32_e32 v1, 1, v1
	s_waitcnt vmcnt(9)
	v_lshrrev_b32_sdwa v1, v1, v7 dst_sel:DWORD dst_unused:UNUSED_PAD src0_sel:DWORD src1_sel:WORD_1
	s_waitcnt vmcnt(8)
	v_bfe_u32 v0, v8, v0, 4
	v_lshlrev_b32_e32 v1, 4, v1
	v_and_or_b32 v0, v1, 48, v0
	v_subrev_u32_e32 v0, 32, v0
	v_cvt_f32_f16_e32 v5, v7
	v_cvt_f32_i32_e32 v0, v0
	v_mov_b32_e32 v4, s3
	v_add_co_u32_e32 v2, vcc, s2, v2
	v_lshlrev_b32_e32 v3, 2, v6
	v_addc_co_u32_e32 v4, vcc, 0, v4, vcc
	v_add_co_u32_e32 v8, vcc, v2, v3
	v_addc_co_u32_e32 v9, vcc, 0, v4, vcc
	v_mul_f32_e32 v4, v5, v0
	s_waitcnt vmcnt(7)
	v_cvt_f32_i32_e32 v0, v16
	s_waitcnt vmcnt(6)
	v_cvt_f32_i32_e32 v10, v17
	;; [unrolled: 2-line block ×6, first 2 shown]
	v_pk_mul_f32 v[0:1], v[4:5], v[0:1] op_sel_hi:[0,1]
	s_waitcnt vmcnt(1)
	v_cvt_f32_i32_e32 v7, v11
	s_waitcnt vmcnt(0)
	v_cvt_f32_i32_e32 v11, v12
	v_pk_mul_f32 v[2:3], v[4:5], v[2:3] op_sel_hi:[0,1]
	v_pk_mul_f32 v[6:7], v[4:5], v[6:7] op_sel_hi:[0,1]
	;; [unrolled: 1-line block ×3, first 2 shown]
	global_store_dwordx4 v[8:9], v[0:3], off
	global_store_dwordx4 v[8:9], v[4:7], off offset:64
	s_endpgm
	.section	.rodata,"a",@progbits
	.p2align	6, 0x0
	.amdhsa_kernel _ZL23dequantize_block_iq4_xsIfEvPKvPT_
		.amdhsa_group_segment_fixed_size 0
		.amdhsa_private_segment_fixed_size 0
		.amdhsa_kernarg_size 16
		.amdhsa_user_sgpr_count 6
		.amdhsa_user_sgpr_private_segment_buffer 1
		.amdhsa_user_sgpr_dispatch_ptr 0
		.amdhsa_user_sgpr_queue_ptr 0
		.amdhsa_user_sgpr_kernarg_segment_ptr 1
		.amdhsa_user_sgpr_dispatch_id 0
		.amdhsa_user_sgpr_flat_scratch_init 0
		.amdhsa_user_sgpr_kernarg_preload_length 0
		.amdhsa_user_sgpr_kernarg_preload_offset 0
		.amdhsa_user_sgpr_private_segment_size 0
		.amdhsa_uses_dynamic_stack 0
		.amdhsa_system_sgpr_private_segment_wavefront_offset 0
		.amdhsa_system_sgpr_workgroup_id_x 1
		.amdhsa_system_sgpr_workgroup_id_y 0
		.amdhsa_system_sgpr_workgroup_id_z 0
		.amdhsa_system_sgpr_workgroup_info 0
		.amdhsa_system_vgpr_workitem_id 0
		.amdhsa_next_free_vgpr 22
		.amdhsa_next_free_sgpr 8
		.amdhsa_accum_offset 24
		.amdhsa_reserve_vcc 1
		.amdhsa_reserve_flat_scratch 0
		.amdhsa_float_round_mode_32 0
		.amdhsa_float_round_mode_16_64 0
		.amdhsa_float_denorm_mode_32 3
		.amdhsa_float_denorm_mode_16_64 3
		.amdhsa_dx10_clamp 1
		.amdhsa_ieee_mode 1
		.amdhsa_fp16_overflow 0
		.amdhsa_tg_split 0
		.amdhsa_exception_fp_ieee_invalid_op 0
		.amdhsa_exception_fp_denorm_src 0
		.amdhsa_exception_fp_ieee_div_zero 0
		.amdhsa_exception_fp_ieee_overflow 0
		.amdhsa_exception_fp_ieee_underflow 0
		.amdhsa_exception_fp_ieee_inexact 0
		.amdhsa_exception_int_div_zero 0
	.end_amdhsa_kernel
	.section	.text._ZL23dequantize_block_iq4_xsIfEvPKvPT_,"axG",@progbits,_ZL23dequantize_block_iq4_xsIfEvPKvPT_,comdat
.Lfunc_end34:
	.size	_ZL23dequantize_block_iq4_xsIfEvPKvPT_, .Lfunc_end34-_ZL23dequantize_block_iq4_xsIfEvPKvPT_
                                        ; -- End function
	.section	.AMDGPU.csdata,"",@progbits
; Kernel info:
; codeLenInByte = 536
; NumSgprs: 12
; NumVgprs: 22
; NumAgprs: 0
; TotalNumVgprs: 22
; ScratchSize: 0
; MemoryBound: 0
; FloatMode: 240
; IeeeMode: 1
; LDSByteSize: 0 bytes/workgroup (compile time only)
; SGPRBlocks: 1
; VGPRBlocks: 2
; NumSGPRsForWavesPerEU: 12
; NumVGPRsForWavesPerEU: 22
; AccumOffset: 24
; Occupancy: 8
; WaveLimiterHint : 0
; COMPUTE_PGM_RSRC2:SCRATCH_EN: 0
; COMPUTE_PGM_RSRC2:USER_SGPR: 6
; COMPUTE_PGM_RSRC2:TRAP_HANDLER: 0
; COMPUTE_PGM_RSRC2:TGID_X_EN: 1
; COMPUTE_PGM_RSRC2:TGID_Y_EN: 0
; COMPUTE_PGM_RSRC2:TGID_Z_EN: 0
; COMPUTE_PGM_RSRC2:TIDIG_COMP_CNT: 0
; COMPUTE_PGM_RSRC3_GFX90A:ACCUM_OFFSET: 5
; COMPUTE_PGM_RSRC3_GFX90A:TG_SPLIT: 0
	.section	.text._ZL22dequantize_block_iq3_sIfEvPKvPT_,"axG",@progbits,_ZL22dequantize_block_iq3_sIfEvPKvPT_,comdat
	.globl	_ZL22dequantize_block_iq3_sIfEvPKvPT_ ; -- Begin function _ZL22dequantize_block_iq3_sIfEvPKvPT_
	.p2align	8
	.type	_ZL22dequantize_block_iq3_sIfEvPKvPT_,@function
_ZL22dequantize_block_iq3_sIfEvPKvPT_:  ; @_ZL22dequantize_block_iq3_sIfEvPKvPT_
; %bb.0:
	s_load_dwordx4 s[0:3], s[4:5], 0x0
	s_mov_b32 s7, 0
	s_lshl_b64 s[4:5], s[6:7], 10
	v_and_b32_e32 v4, 7, v0
	v_lshlrev_b32_e32 v2, 3, v4
	s_waitcnt lgkmcnt(0)
	s_add_u32 s4, s2, s4
	s_addc_u32 s5, s3, s5
	s_mul_i32 s3, s6, 0x6e
	s_mul_hi_u32 s2, s6, 0x6e
	s_add_u32 s0, s0, s3
	s_addc_u32 s1, s1, s2
	v_lshrrev_b32_e32 v1, 3, v0
	v_mov_b32_e32 v3, s1
	v_add_co_u32_e32 v2, vcc, s0, v2
	v_addc_co_u32_e32 v3, vcc, 0, v3, vcc
	v_lshlrev_b32_e32 v5, 1, v1
	v_add_co_u32_e32 v2, vcc, v2, v5
	v_addc_co_u32_e32 v3, vcc, 0, v3, vcc
	global_load_ubyte v6, v4, s[0:1] offset:66
	global_load_ushort v7, v[2:3], off offset:2
	v_lshlrev_b32_e32 v2, 2, v4
	v_add_co_u32_e32 v1, vcc, v2, v1
	v_bfe_u32 v9, v0, 1, 2
	v_addc_co_u32_e64 v3, s[2:3], 0, 0, vcc
	v_mov_b32_e32 v10, s1
	v_add_co_u32_e32 v2, vcc, s0, v1
	v_mov_b32_e32 v8, 0
	v_addc_co_u32_e32 v3, vcc, v10, v3, vcc
	global_load_ubyte v1, v9, s[0:1] offset:106
	global_load_sbyte v10, v[2:3], off offset:74
	global_load_ushort v11, v8, s[0:1]
	v_sub_u32_e32 v2, 8, v5
	s_movk_i32 s2, 0x100
	v_sub_u32_e32 v3, 7, v5
	s_getpc_b64 s[0:1]
	s_add_u32 s0, s0, _ZL9iq3s_grid@rel32@lo+4
	s_addc_u32 s1, s1, _ZL9iq3s_grid@rel32@hi+12
	s_waitcnt vmcnt(4)
	v_lshlrev_b32_e32 v2, v2, v6
	s_waitcnt vmcnt(3)
	v_and_b32_e32 v5, 0xff, v7
	v_lshlrev_b32_e32 v3, v3, v6
	v_lshrrev_b16_e32 v6, 8, v7
	v_and_or_b32 v2, v2, s2, v5
	v_and_or_b32 v3, v3, s2, v6
	v_lshlrev_b32_e32 v2, 2, v2
	v_lshlrev_b32_e32 v3, 2, v3
	global_load_dword v5, v2, s[0:1]
	global_load_dword v6, v3, s[0:1]
	v_lshlrev_b32_e32 v3, 7, v4
	v_and_b32_e32 v2, 0x3f8, v0
	v_lshlrev_b32_e32 v0, 2, v0
	v_mov_b32_e32 v4, s5
	v_add_co_u32_e32 v3, vcc, s4, v3
	v_lshlrev_b32_e32 v2, 2, v2
	v_and_b32_e32 v0, 4, v0
	v_addc_co_u32_e32 v4, vcc, 0, v4, vcc
	v_add_co_u32_e32 v8, vcc, v3, v2
	s_waitcnt vmcnt(2)
	v_cvt_f32_f16_e32 v2, v11
	v_lshrrev_b32_e32 v0, v0, v1
	v_lshlrev_b32_e32 v0, 1, v0
	v_and_or_b32 v0, v0, 30, 1
	v_cvt_f32_ubyte0_e32 v0, v0
	v_addc_co_u32_e32 v9, vcc, 0, v4, vcc
	v_and_b32_e32 v1, 1, v10
	v_mul_f32_e32 v0, v2, v0
	v_and_b32_e32 v3, 16, v10
	v_cmp_eq_u16_e32 vcc, 0, v1
	v_and_b32_e32 v7, 2, v10
	v_and_b32_e32 v11, 32, v10
	;; [unrolled: 1-line block ×5, first 2 shown]
	s_waitcnt vmcnt(1)
	v_cvt_f32_ubyte0_e32 v2, v5
	s_waitcnt vmcnt(0)
	v_cvt_f32_ubyte0_e32 v4, v6
	v_cvt_f32_ubyte1_e32 v15, v5
	v_cvt_f32_ubyte1_e32 v16, v6
	v_cvt_f32_ubyte2_e32 v17, v5
	v_cvt_f32_ubyte2_e32 v18, v6
	v_cvt_f32_ubyte3_e32 v5, v5
	v_cvt_f32_ubyte3_e32 v6, v6
	v_mul_f32_e32 v2, v0, v2
	v_mul_f32_e32 v4, v0, v4
	;; [unrolled: 1-line block ×8, first 2 shown]
	v_cndmask_b32_e64 v0, -v2, v2, vcc
	v_cmp_eq_u16_e32 vcc, 0, v3
	v_cndmask_b32_e64 v4, -v4, v4, vcc
	v_cmp_eq_u16_e32 vcc, 0, v7
	;; [unrolled: 2-line block ×6, first 2 shown]
	v_cndmask_b32_e64 v3, -v19, v19, vcc
	v_cmp_gt_i16_e32 vcc, 0, v10
	v_cndmask_b32_e64 v7, v20, -v20, vcc
	global_store_dwordx4 v[8:9], v[0:3], off
	global_store_dwordx4 v[8:9], v[4:7], off offset:16
	s_endpgm
	.section	.rodata,"a",@progbits
	.p2align	6, 0x0
	.amdhsa_kernel _ZL22dequantize_block_iq3_sIfEvPKvPT_
		.amdhsa_group_segment_fixed_size 0
		.amdhsa_private_segment_fixed_size 0
		.amdhsa_kernarg_size 16
		.amdhsa_user_sgpr_count 6
		.amdhsa_user_sgpr_private_segment_buffer 1
		.amdhsa_user_sgpr_dispatch_ptr 0
		.amdhsa_user_sgpr_queue_ptr 0
		.amdhsa_user_sgpr_kernarg_segment_ptr 1
		.amdhsa_user_sgpr_dispatch_id 0
		.amdhsa_user_sgpr_flat_scratch_init 0
		.amdhsa_user_sgpr_kernarg_preload_length 0
		.amdhsa_user_sgpr_kernarg_preload_offset 0
		.amdhsa_user_sgpr_private_segment_size 0
		.amdhsa_uses_dynamic_stack 0
		.amdhsa_system_sgpr_private_segment_wavefront_offset 0
		.amdhsa_system_sgpr_workgroup_id_x 1
		.amdhsa_system_sgpr_workgroup_id_y 0
		.amdhsa_system_sgpr_workgroup_id_z 0
		.amdhsa_system_sgpr_workgroup_info 0
		.amdhsa_system_vgpr_workitem_id 0
		.amdhsa_next_free_vgpr 21
		.amdhsa_next_free_sgpr 8
		.amdhsa_accum_offset 24
		.amdhsa_reserve_vcc 1
		.amdhsa_reserve_flat_scratch 0
		.amdhsa_float_round_mode_32 0
		.amdhsa_float_round_mode_16_64 0
		.amdhsa_float_denorm_mode_32 3
		.amdhsa_float_denorm_mode_16_64 3
		.amdhsa_dx10_clamp 1
		.amdhsa_ieee_mode 1
		.amdhsa_fp16_overflow 0
		.amdhsa_tg_split 0
		.amdhsa_exception_fp_ieee_invalid_op 0
		.amdhsa_exception_fp_denorm_src 0
		.amdhsa_exception_fp_ieee_div_zero 0
		.amdhsa_exception_fp_ieee_overflow 0
		.amdhsa_exception_fp_ieee_underflow 0
		.amdhsa_exception_fp_ieee_inexact 0
		.amdhsa_exception_int_div_zero 0
	.end_amdhsa_kernel
	.section	.text._ZL22dequantize_block_iq3_sIfEvPKvPT_,"axG",@progbits,_ZL22dequantize_block_iq3_sIfEvPKvPT_,comdat
.Lfunc_end35:
	.size	_ZL22dequantize_block_iq3_sIfEvPKvPT_, .Lfunc_end35-_ZL22dequantize_block_iq3_sIfEvPKvPT_
                                        ; -- End function
	.section	.AMDGPU.csdata,"",@progbits
; Kernel info:
; codeLenInByte = 560
; NumSgprs: 12
; NumVgprs: 21
; NumAgprs: 0
; TotalNumVgprs: 21
; ScratchSize: 0
; MemoryBound: 0
; FloatMode: 240
; IeeeMode: 1
; LDSByteSize: 0 bytes/workgroup (compile time only)
; SGPRBlocks: 1
; VGPRBlocks: 2
; NumSGPRsForWavesPerEU: 12
; NumVGPRsForWavesPerEU: 21
; AccumOffset: 24
; Occupancy: 8
; WaveLimiterHint : 0
; COMPUTE_PGM_RSRC2:SCRATCH_EN: 0
; COMPUTE_PGM_RSRC2:USER_SGPR: 6
; COMPUTE_PGM_RSRC2:TRAP_HANDLER: 0
; COMPUTE_PGM_RSRC2:TGID_X_EN: 1
; COMPUTE_PGM_RSRC2:TGID_Y_EN: 0
; COMPUTE_PGM_RSRC2:TGID_Z_EN: 0
; COMPUTE_PGM_RSRC2:TIDIG_COMP_CNT: 0
; COMPUTE_PGM_RSRC3_GFX90A:ACCUM_OFFSET: 5
; COMPUTE_PGM_RSRC3_GFX90A:TG_SPLIT: 0
	.section	.text._ZL22dequantize_block_mxfp4IfEvPKvPT_,"axG",@progbits,_ZL22dequantize_block_mxfp4IfEvPKvPT_,comdat
	.globl	_ZL22dequantize_block_mxfp4IfEvPKvPT_ ; -- Begin function _ZL22dequantize_block_mxfp4IfEvPKvPT_
	.p2align	8
	.type	_ZL22dequantize_block_mxfp4IfEvPKvPT_,@function
_ZL22dequantize_block_mxfp4IfEvPKvPT_:  ; @_ZL22dequantize_block_mxfp4IfEvPKvPT_
; %bb.0:
	s_load_dwordx4 s[0:3], s[4:5], 0x0
	s_mul_i32 s5, s6, 0x88
	s_mul_hi_u32 s4, s6, 0x88
	v_and_b32_e32 v4, 7, v0
	v_lshrrev_b32_e32 v0, 1, v0
	s_waitcnt lgkmcnt(0)
	s_add_u32 s0, s0, s5
	s_addc_u32 s1, s1, s4
	v_and_b32_e32 v5, 0x1fc, v0
	v_mad_u64_u32 v[0:1], s[0:1], v4, 17, s[0:1]
	v_add_co_u32_e32 v2, vcc, v0, v5
	v_addc_co_u32_e32 v3, vcc, 0, v1, vcc
	global_load_dword v6, v[2:3], off offset:1
	global_load_ubyte v7, v[0:1], off
	s_mov_b32 s7, 0
	s_lshl_b64 s[0:1], s[6:7], 10
	v_mov_b32_e32 v0, 4
	s_add_u32 s2, s2, s0
	s_addc_u32 s3, s3, s1
	s_getpc_b64 s[0:1]
	s_add_u32 s0, s0, _ZL13kvalues_mxfp4@rel32@lo+4
	s_addc_u32 s1, s1, _ZL13kvalues_mxfp4@rel32@hi+12
	v_mov_b32_e32 v8, s1
	s_waitcnt vmcnt(1)
	v_lshrrev_b16_e32 v2, 4, v6
	v_lshrrev_b32_e32 v1, 8, v6
	v_and_b32_e32 v9, 15, v6
	v_bfe_u32 v10, v6, 8, 4
	v_bfe_u32 v11, v6, 16, 4
	;; [unrolled: 1-line block ×4, first 2 shown]
	v_lshrrev_b16_sdwa v6, v0, v6 dst_sel:DWORD dst_unused:UNUSED_PAD src0_sel:DWORD src1_sel:BYTE_3
	v_and_b32_e32 v0, 15, v2
	v_lshrrev_b16_e32 v1, 4, v1
	v_and_b32_e32 v0, 0xffff, v0
	v_and_b32_e32 v2, 15, v1
	v_add_co_u32_e32 v0, vcc, s0, v0
	v_addc_co_u32_e32 v1, vcc, 0, v8, vcc
	v_and_b32_e32 v2, 0xffff, v2
	v_add_co_u32_e32 v2, vcc, s0, v2
	v_addc_co_u32_e32 v3, vcc, 0, v8, vcc
	global_load_sbyte v14, v9, s[0:1]
	global_load_sbyte v15, v[0:1], off
	global_load_sbyte v16, v10, s[0:1]
	global_load_sbyte v17, v[2:3], off
	global_load_sbyte v18, v11, s[0:1]
	global_load_sbyte v19, v12, s[0:1]
	;; [unrolled: 1-line block ×3, first 2 shown]
	v_add_co_u32_e32 v0, vcc, s0, v6
	v_addc_co_u32_e32 v1, vcc, 0, v8, vcc
	global_load_sbyte v3, v[0:1], off
	v_lshlrev_b32_e32 v1, 7, v4
	v_mov_b32_e32 v4, s3
	v_add_co_u32_e32 v1, vcc, s2, v1
	v_lshlrev_b32_e32 v2, 2, v5
	v_addc_co_u32_e32 v4, vcc, 0, v4, vcc
	v_add_co_u32_e32 v8, vcc, v1, v2
	v_addc_co_u32_e32 v9, vcc, 0, v4, vcc
	v_mov_b32_e32 v0, 0x400000
	s_waitcnt vmcnt(8)
	v_lshlrev_b32_e32 v1, 23, v7
	v_cmp_ne_u32_e32 vcc, 0, v7
	v_cndmask_b32_e32 v2, v0, v1, vcc
	s_waitcnt vmcnt(7)
	v_cvt_f32_i32_e32 v0, v14
	s_waitcnt vmcnt(6)
	v_cvt_f32_i32_e32 v4, v15
	;; [unrolled: 2-line block ×8, first 2 shown]
	v_pk_mul_f32 v[0:1], v[2:3], v[0:1] op_sel_hi:[0,1]
	v_pk_mul_f32 v[6:7], v[2:3], v[6:7] op_sel_hi:[0,1]
	v_pk_mul_f32 v[0:1], v[0:1], 0.5 op_sel_hi:[1,0]
	v_pk_mul_f32 v[4:5], v[2:3], v[4:5] op_sel_hi:[0,1]
	v_pk_mul_f32 v[10:11], v[2:3], v[10:11] op_sel_hi:[0,1]
	v_pk_mul_f32 v[2:3], v[6:7], 0.5 op_sel_hi:[1,0]
	v_pk_mul_f32 v[4:5], v[4:5], 0.5 op_sel_hi:[1,0]
	;; [unrolled: 1-line block ×3, first 2 shown]
	global_store_dwordx4 v[8:9], v[0:3], off
	global_store_dwordx4 v[8:9], v[4:7], off offset:64
	s_endpgm
	.section	.rodata,"a",@progbits
	.p2align	6, 0x0
	.amdhsa_kernel _ZL22dequantize_block_mxfp4IfEvPKvPT_
		.amdhsa_group_segment_fixed_size 0
		.amdhsa_private_segment_fixed_size 0
		.amdhsa_kernarg_size 16
		.amdhsa_user_sgpr_count 6
		.amdhsa_user_sgpr_private_segment_buffer 1
		.amdhsa_user_sgpr_dispatch_ptr 0
		.amdhsa_user_sgpr_queue_ptr 0
		.amdhsa_user_sgpr_kernarg_segment_ptr 1
		.amdhsa_user_sgpr_dispatch_id 0
		.amdhsa_user_sgpr_flat_scratch_init 0
		.amdhsa_user_sgpr_kernarg_preload_length 0
		.amdhsa_user_sgpr_kernarg_preload_offset 0
		.amdhsa_user_sgpr_private_segment_size 0
		.amdhsa_uses_dynamic_stack 0
		.amdhsa_system_sgpr_private_segment_wavefront_offset 0
		.amdhsa_system_sgpr_workgroup_id_x 1
		.amdhsa_system_sgpr_workgroup_id_y 0
		.amdhsa_system_sgpr_workgroup_id_z 0
		.amdhsa_system_sgpr_workgroup_info 0
		.amdhsa_system_vgpr_workitem_id 0
		.amdhsa_next_free_vgpr 21
		.amdhsa_next_free_sgpr 8
		.amdhsa_accum_offset 24
		.amdhsa_reserve_vcc 1
		.amdhsa_reserve_flat_scratch 0
		.amdhsa_float_round_mode_32 0
		.amdhsa_float_round_mode_16_64 0
		.amdhsa_float_denorm_mode_32 3
		.amdhsa_float_denorm_mode_16_64 3
		.amdhsa_dx10_clamp 1
		.amdhsa_ieee_mode 1
		.amdhsa_fp16_overflow 0
		.amdhsa_tg_split 0
		.amdhsa_exception_fp_ieee_invalid_op 0
		.amdhsa_exception_fp_denorm_src 0
		.amdhsa_exception_fp_ieee_div_zero 0
		.amdhsa_exception_fp_ieee_overflow 0
		.amdhsa_exception_fp_ieee_underflow 0
		.amdhsa_exception_fp_ieee_inexact 0
		.amdhsa_exception_int_div_zero 0
	.end_amdhsa_kernel
	.section	.text._ZL22dequantize_block_mxfp4IfEvPKvPT_,"axG",@progbits,_ZL22dequantize_block_mxfp4IfEvPKvPT_,comdat
.Lfunc_end36:
	.size	_ZL22dequantize_block_mxfp4IfEvPKvPT_, .Lfunc_end36-_ZL22dequantize_block_mxfp4IfEvPKvPT_
                                        ; -- End function
	.section	.AMDGPU.csdata,"",@progbits
; Kernel info:
; codeLenInByte = 500
; NumSgprs: 12
; NumVgprs: 21
; NumAgprs: 0
; TotalNumVgprs: 21
; ScratchSize: 0
; MemoryBound: 0
; FloatMode: 240
; IeeeMode: 1
; LDSByteSize: 0 bytes/workgroup (compile time only)
; SGPRBlocks: 1
; VGPRBlocks: 2
; NumSGPRsForWavesPerEU: 12
; NumVGPRsForWavesPerEU: 21
; AccumOffset: 24
; Occupancy: 8
; WaveLimiterHint : 0
; COMPUTE_PGM_RSRC2:SCRATCH_EN: 0
; COMPUTE_PGM_RSRC2:USER_SGPR: 6
; COMPUTE_PGM_RSRC2:TRAP_HANDLER: 0
; COMPUTE_PGM_RSRC2:TGID_X_EN: 1
; COMPUTE_PGM_RSRC2:TGID_Y_EN: 0
; COMPUTE_PGM_RSRC2:TGID_Z_EN: 0
; COMPUTE_PGM_RSRC2:TIDIG_COMP_CNT: 0
; COMPUTE_PGM_RSRC3_GFX90A:ACCUM_OFFSET: 5
; COMPUTE_PGM_RSRC3_GFX90A:TG_SPLIT: 0
	.section	.text._ZL22dequantize_block_nvfp4IfEvPKvPT_l,"axG",@progbits,_ZL22dequantize_block_nvfp4IfEvPKvPT_l,comdat
	.globl	_ZL22dequantize_block_nvfp4IfEvPKvPT_l ; -- Begin function _ZL22dequantize_block_nvfp4IfEvPKvPT_l
	.p2align	8
	.type	_ZL22dequantize_block_nvfp4IfEvPKvPT_l,@function
_ZL22dequantize_block_nvfp4IfEvPKvPT_l: ; @_ZL22dequantize_block_nvfp4IfEvPKvPT_l
; %bb.0:
	s_load_dwordx2 s[2:3], s[4:5], 0x10
	s_mov_b32 s7, 0
	s_lshl_b64 s[0:1], s[6:7], 6
	s_waitcnt lgkmcnt(0)
	v_pk_mov_b32 v[2:3], s[2:3], s[2:3] op_sel:[0,1]
	v_cmp_ge_i64_e32 vcc, s[0:1], v[2:3]
	s_cbranch_vccnz .LBB37_8
; %bb.1:
	s_load_dwordx2 s[2:3], s[4:5], 0x0
	s_mul_hi_u32 s7, s6, 36
	s_mul_i32 s6, s6, 36
	v_lshrrev_b32_e32 v1, 3, v0
	s_mov_b64 s[8:9], 0
	s_waitcnt lgkmcnt(0)
	s_add_u32 s6, s2, s6
	s_addc_u32 s7, s3, s7
	global_load_ubyte v3, v1, s[6:7]
	s_movk_i32 s2, 0x7e
                                        ; implicit-def: $sgpr12
	s_waitcnt vmcnt(0)
	v_cmp_lt_i16_e32 vcc, s2, v3
	s_and_saveexec_b64 s[2:3], vcc
	s_xor_b64 s[2:3], exec, s[2:3]
; %bb.2:
	s_movk_i32 s8, 0x7f
	v_cmp_ne_u16_e32 vcc, s8, v3
	s_mov_b32 s12, 0
	s_and_b64 s[8:9], vcc, exec
; %bb.3:
	s_or_saveexec_b64 s[10:11], s[2:3]
	s_load_dwordx2 s[2:3], s[4:5], 0x8
	v_mov_b32_e32 v2, s12
	s_xor_b64 exec, exec, s[10:11]
; %bb.4:
	v_cmp_ne_u16_e32 vcc, 0, v3
	s_andn2_b64 s[4:5], s[8:9], exec
	s_and_b64 s[8:9], vcc, exec
	v_mov_b32_e32 v2, 0
	s_or_b64 s[8:9], s[4:5], s[8:9]
; %bb.5:
	s_or_b64 exec, exec, s[10:11]
	s_and_saveexec_b64 s[4:5], s[8:9]
	s_cbranch_execz .LBB37_7
; %bb.6:
	v_and_b32_e32 v2, 0xffff, v3
	v_bfe_u32 v3, v2, 3, 4
	v_and_b32_e32 v2, 7, v2
	v_cvt_f32_ubyte0_e32 v2, v2
	s_mov_b32 s8, 0x3e000000
	v_fma_f32 v4, v2, s8, 1.0
	v_add_u32_e32 v5, -7, v3
	v_cmp_eq_u32_e32 vcc, 0, v3
	v_cndmask_b32_e32 v2, v4, v2, vcc
	v_cndmask_b32_e64 v3, v5, -9, vcc
	v_ldexp_f32 v2, v2, v3
	v_mul_f32_e32 v2, 0.5, v2
.LBB37_7:
	s_or_b64 exec, exec, s[4:5]
	global_load_ubyte v3, v0, s[6:7] offset:4
	s_getpc_b64 s[4:5]
	s_add_u32 s4, s4, _ZL13kvalues_mxfp4@rel32@lo+4
	s_addc_u32 s5, s5, _ZL13kvalues_mxfp4@rel32@hi+12
	v_lshlrev_b32_e32 v1, 4, v1
	v_add_co_u32_e32 v7, vcc, s0, v1
	v_and_or_b32 v0, v0, 7, v7
	s_waitcnt vmcnt(0)
	v_and_b32_e32 v4, 15, v3
	v_lshrrev_b32_e32 v3, 4, v3
	global_load_sbyte v5, v4, s[4:5]
	global_load_sbyte v6, v3, s[4:5]
	v_mov_b32_e32 v3, s1
	v_addc_co_u32_e32 v1, vcc, 0, v3, vcc
	v_lshlrev_b64 v[0:1], 2, v[0:1]
	s_waitcnt lgkmcnt(0)
	v_mov_b32_e32 v4, s3
	v_add_co_u32_e32 v0, vcc, s2, v0
	v_addc_co_u32_e32 v1, vcc, v4, v1, vcc
	s_waitcnt vmcnt(1)
	v_cvt_f32_i32_e32 v3, v5
	s_waitcnt vmcnt(0)
	v_cvt_f32_i32_e32 v5, v6
	v_mul_f32_e32 v3, v2, v3
	v_mul_f32_e32 v2, v2, v5
	global_store_dword v[0:1], v3, off
	global_store_dword v[0:1], v2, off offset:32
.LBB37_8:
	s_endpgm
	.section	.rodata,"a",@progbits
	.p2align	6, 0x0
	.amdhsa_kernel _ZL22dequantize_block_nvfp4IfEvPKvPT_l
		.amdhsa_group_segment_fixed_size 0
		.amdhsa_private_segment_fixed_size 0
		.amdhsa_kernarg_size 24
		.amdhsa_user_sgpr_count 6
		.amdhsa_user_sgpr_private_segment_buffer 1
		.amdhsa_user_sgpr_dispatch_ptr 0
		.amdhsa_user_sgpr_queue_ptr 0
		.amdhsa_user_sgpr_kernarg_segment_ptr 1
		.amdhsa_user_sgpr_dispatch_id 0
		.amdhsa_user_sgpr_flat_scratch_init 0
		.amdhsa_user_sgpr_kernarg_preload_length 0
		.amdhsa_user_sgpr_kernarg_preload_offset 0
		.amdhsa_user_sgpr_private_segment_size 0
		.amdhsa_uses_dynamic_stack 0
		.amdhsa_system_sgpr_private_segment_wavefront_offset 0
		.amdhsa_system_sgpr_workgroup_id_x 1
		.amdhsa_system_sgpr_workgroup_id_y 0
		.amdhsa_system_sgpr_workgroup_id_z 0
		.amdhsa_system_sgpr_workgroup_info 0
		.amdhsa_system_vgpr_workitem_id 0
		.amdhsa_next_free_vgpr 8
		.amdhsa_next_free_sgpr 13
		.amdhsa_accum_offset 8
		.amdhsa_reserve_vcc 1
		.amdhsa_reserve_flat_scratch 0
		.amdhsa_float_round_mode_32 0
		.amdhsa_float_round_mode_16_64 0
		.amdhsa_float_denorm_mode_32 3
		.amdhsa_float_denorm_mode_16_64 3
		.amdhsa_dx10_clamp 1
		.amdhsa_ieee_mode 1
		.amdhsa_fp16_overflow 0
		.amdhsa_tg_split 0
		.amdhsa_exception_fp_ieee_invalid_op 0
		.amdhsa_exception_fp_denorm_src 0
		.amdhsa_exception_fp_ieee_div_zero 0
		.amdhsa_exception_fp_ieee_overflow 0
		.amdhsa_exception_fp_ieee_underflow 0
		.amdhsa_exception_fp_ieee_inexact 0
		.amdhsa_exception_int_div_zero 0
	.end_amdhsa_kernel
	.section	.text._ZL22dequantize_block_nvfp4IfEvPKvPT_l,"axG",@progbits,_ZL22dequantize_block_nvfp4IfEvPKvPT_l,comdat
.Lfunc_end37:
	.size	_ZL22dequantize_block_nvfp4IfEvPKvPT_l, .Lfunc_end37-_ZL22dequantize_block_nvfp4IfEvPKvPT_l
                                        ; -- End function
	.section	.AMDGPU.csdata,"",@progbits
; Kernel info:
; codeLenInByte = 392
; NumSgprs: 17
; NumVgprs: 8
; NumAgprs: 0
; TotalNumVgprs: 8
; ScratchSize: 0
; MemoryBound: 0
; FloatMode: 240
; IeeeMode: 1
; LDSByteSize: 0 bytes/workgroup (compile time only)
; SGPRBlocks: 2
; VGPRBlocks: 0
; NumSGPRsForWavesPerEU: 17
; NumVGPRsForWavesPerEU: 8
; AccumOffset: 8
; Occupancy: 8
; WaveLimiterHint : 0
; COMPUTE_PGM_RSRC2:SCRATCH_EN: 0
; COMPUTE_PGM_RSRC2:USER_SGPR: 6
; COMPUTE_PGM_RSRC2:TRAP_HANDLER: 0
; COMPUTE_PGM_RSRC2:TGID_X_EN: 1
; COMPUTE_PGM_RSRC2:TGID_Y_EN: 0
; COMPUTE_PGM_RSRC2:TGID_Z_EN: 0
; COMPUTE_PGM_RSRC2:TIDIG_COMP_CNT: 0
; COMPUTE_PGM_RSRC3_GFX90A:ACCUM_OFFSET: 1
; COMPUTE_PGM_RSRC3_GFX90A:TG_SPLIT: 0
	.section	.text._ZL13convert_unaryIf6__halfEvPKvPT0_lll15HIP_vector_typeIjLj3EElll,"axG",@progbits,_ZL13convert_unaryIf6__halfEvPKvPT0_lll15HIP_vector_typeIjLj3EElll,comdat
	.globl	_ZL13convert_unaryIf6__halfEvPKvPT0_lll15HIP_vector_typeIjLj3EElll ; -- Begin function _ZL13convert_unaryIf6__halfEvPKvPT0_lll15HIP_vector_typeIjLj3EElll
	.p2align	8
	.type	_ZL13convert_unaryIf6__halfEvPKvPT0_lll15HIP_vector_typeIjLj3EElll,@function
_ZL13convert_unaryIf6__halfEvPKvPT0_lll15HIP_vector_typeIjLj3EElll: ; @_ZL13convert_unaryIf6__halfEvPKvPT0_lll15HIP_vector_typeIjLj3EElll
; %bb.0:
	s_load_dword s0, s[4:5], 0x5c
	s_load_dwordx4 s[20:23], s[4:5], 0x10
	s_add_u32 s28, s4, 0x50
	s_addc_u32 s29, s5, 0
	v_mov_b32_e32 v1, 0
	s_waitcnt lgkmcnt(0)
	s_and_b32 s0, s0, 0xffff
	v_mov_b32_e32 v2, s6
	v_mad_u64_u32 v[2:3], s[0:1], s0, v2, v[0:1]
	v_cmp_gt_i64_e32 vcc, s[20:21], v[2:3]
	s_and_saveexec_b64 s[0:1], vcc
	s_cbranch_execz .LBB38_16
; %bb.1:
	s_mov_b32 s10, s7
	s_load_dwordx2 s[6:7], s[4:5], 0x20
	s_mov_b32 s11, 0
	v_pk_mov_b32 v[0:1], s[22:23], s[22:23] op_sel:[0,1]
	v_cmp_ge_i64_e32 vcc, s[10:11], v[0:1]
	s_cbranch_vccnz .LBB38_16
; %bb.2:
	s_load_dwordx4 s[24:27], s[4:5], 0x0
	s_load_dwordx8 s[12:19], s[4:5], 0x28
	s_load_dwordx2 s[30:31], s[4:5], 0x48
	s_waitcnt lgkmcnt(0)
	s_load_dword s15, s[28:29], 0x4
	v_lshlrev_b64 v[0:1], 1, v[2:3]
	s_mul_i32 s0, s22, s21
	s_mul_hi_u32 s1, s22, s20
	v_mov_b32_e32 v4, s27
	v_add_co_u32_e32 v0, vcc, s26, v0
	s_add_i32 s0, s1, s0
	s_mul_i32 s1, s23, s20
	s_mov_b32 s9, s11
	v_addc_co_u32_e32 v1, vcc, v4, v1, vcc
	v_pk_mov_b32 v[4:5], s[6:7], s[6:7] op_sel:[0,1]
	s_add_i32 s1, s0, s1
	s_mul_i32 s0, s22, s20
	s_mov_b32 s33, s8
	s_mov_b32 s44, s11
	;; [unrolled: 1-line block ×21, first 2 shown]
	s_lshl_b64 s[4:5], s[20:21], 1
	s_lshl_b64 s[20:21], s[0:1], 1
	s_sub_i32 s64, 0, s14
	v_cmp_lt_i64_e64 s[0:1], s[8:9], v[4:5]
	v_lshlrev_b64 v[2:3], 2, v[2:3]
	v_pk_mov_b32 v[4:5], s[22:23], s[22:23] op_sel:[0,1]
	v_mov_b32_e32 v10, 0x4f800000
	v_pk_mov_b32 v[6:7], s[6:7], s[6:7] op_sel:[0,1]
	s_mov_b64 s[26:27], s[10:11]
	s_branch .LBB38_4
.LBB38_3:                               ;   in Loop: Header=BB38_4 Depth=1
	s_waitcnt lgkmcnt(0)
	s_add_u32 s26, s26, s15
	s_addc_u32 s27, s27, 0
	v_cmp_ge_i64_e32 vcc, s[26:27], v[4:5]
	s_cbranch_vccnz .LBB38_16
.LBB38_4:                               ; =>This Loop Header: Depth=1
                                        ;     Child Loop BB38_10 Depth 2
                                        ;     Child Loop BB38_14 Depth 2
	s_andn2_b64 vcc, exec, s[0:1]
	s_cbranch_vccnz .LBB38_3
; %bb.5:                                ;   in Loop: Header=BB38_4 Depth=1
	s_load_dword s10, s[28:29], 0x8
	v_pk_mov_b32 v[8:9], s[6:7], s[6:7] op_sel:[0,1]
	s_waitcnt lgkmcnt(0)
	s_add_u32 s34, s8, s10
	s_addc_u32 s35, 0, 0
	v_pk_mov_b32 v[12:13], s[34:35], s[34:35] op_sel:[0,1]
	v_cmp_lt_i64_e64 s[2:3], s[34:35], v[8:9]
	v_cmp_gt_i64_e32 vcc, s[6:7], v[12:13]
	v_cndmask_b32_e64 v8, 0, 1, s[2:3]
	s_and_b64 s[36:37], vcc, exec
	s_cselect_b32 s37, s6, s34
	v_readfirstlane_b32 s38, v8
	s_cselect_b32 s36, s7, s35
	s_sub_u32 s37, s37, s38
	s_subb_u32 s36, s36, 0
	s_sub_u32 s38, s37, s34
	s_subb_u32 s35, s36, s35
	s_mov_b32 s34, s11
	s_cmp_lg_u64 s[34:35], 0
	s_cbranch_scc0 .LBB38_15
; %bb.6:                                ;   in Loop: Header=BB38_4 Depth=1
	v_cvt_f32_u32_e32 v8, s10
	s_sub_u32 s34, 0, s10
	s_subb_u32 s36, 0, 0
	v_mac_f32_e32 v8, 0, v10
	v_rcp_f32_e32 v8, v8
	v_mul_f32_e32 v8, 0x5f7ffffc, v8
	v_mul_f32_e32 v9, 0x2f800000, v8
	v_trunc_f32_e32 v9, v9
	v_mac_f32_e32 v8, 0xcf800000, v9
	v_cvt_u32_f32_e32 v9, v9
	v_cvt_u32_f32_e32 v8, v8
	v_readfirstlane_b32 s37, v9
	v_readfirstlane_b32 s39, v8
	s_mul_i32 s40, s34, s37
	s_mul_hi_u32 s42, s34, s39
	s_mul_i32 s41, s36, s39
	s_add_i32 s40, s42, s40
	s_mul_i32 s43, s34, s39
	s_add_i32 s40, s40, s41
	s_mul_hi_u32 s42, s39, s43
	s_mul_hi_u32 s41, s39, s40
	s_mul_i32 s39, s39, s40
	s_add_u32 s39, s42, s39
	s_addc_u32 s41, 0, s41
	s_mul_hi_u32 s65, s37, s43
	s_mul_i32 s43, s37, s43
	s_add_u32 s39, s39, s43
	s_mul_hi_u32 s42, s37, s40
	s_addc_u32 s39, s41, s65
	s_addc_u32 s41, s42, 0
	s_mul_i32 s40, s37, s40
	s_add_u32 s39, s39, s40
	s_addc_u32 s40, 0, s41
	v_add_co_u32_e32 v8, vcc, s39, v8
	s_cmp_lg_u64 vcc, 0
	s_addc_u32 s37, s37, s40
	v_readfirstlane_b32 s40, v8
	s_mul_i32 s39, s34, s37
	s_mul_hi_u32 s41, s34, s40
	s_add_i32 s39, s41, s39
	s_mul_i32 s36, s36, s40
	s_add_i32 s39, s39, s36
	s_mul_i32 s34, s34, s40
	s_mul_hi_u32 s41, s37, s34
	s_mul_i32 s42, s37, s34
	s_mul_i32 s65, s40, s39
	s_mul_hi_u32 s34, s40, s34
	s_mul_hi_u32 s43, s40, s39
	s_add_u32 s34, s34, s65
	s_addc_u32 s40, 0, s43
	s_add_u32 s34, s34, s42
	s_mul_hi_u32 s36, s37, s39
	s_addc_u32 s34, s40, s41
	s_addc_u32 s36, s36, 0
	s_mul_i32 s39, s37, s39
	s_add_u32 s34, s34, s39
	s_addc_u32 s36, 0, s36
	v_add_co_u32_e32 v8, vcc, s34, v8
	s_cmp_lg_u64 vcc, 0
	s_addc_u32 s34, s37, s36
	v_readfirstlane_b32 s39, v8
	s_mul_i32 s37, s38, s34
	s_mul_hi_u32 s40, s38, s39
	s_mul_hi_u32 s36, s38, s34
	s_add_u32 s37, s40, s37
	s_addc_u32 s36, 0, s36
	s_mul_hi_u32 s41, s35, s39
	s_mul_i32 s39, s35, s39
	s_add_u32 s37, s37, s39
	s_mul_hi_u32 s40, s35, s34
	s_addc_u32 s36, s36, s41
	s_addc_u32 s37, s40, 0
	s_mul_i32 s34, s35, s34
	s_add_u32 s34, s36, s34
	s_addc_u32 s36, 0, s37
	s_add_u32 s37, s34, 1
	s_addc_u32 s39, s36, 0
	s_add_u32 s40, s34, 2
	s_mul_i32 s42, s10, s36
	s_mul_hi_u32 s43, s10, s34
	s_addc_u32 s41, s36, 0
	s_add_i32 s43, s43, s42
	s_mul_i32 s42, s10, s34
	v_mov_b32_e32 v8, s42
	v_sub_co_u32_e32 v8, vcc, s38, v8
	s_cmp_lg_u64 vcc, 0
	s_subb_u32 s35, s35, s43
	v_subrev_co_u32_e32 v9, vcc, s10, v8
	s_cmp_lg_u64 vcc, 0
	s_subb_u32 s42, s35, 0
	v_readfirstlane_b32 s43, v9
	s_cmp_ge_u32 s43, s10
	s_cselect_b32 s43, -1, 0
	s_cmp_eq_u32 s42, 0
	s_cselect_b32 s42, s43, -1
	s_cmp_lg_u32 s42, 0
	s_cselect_b32 s40, s40, s37
	s_cselect_b32 s37, s41, s39
	v_readfirstlane_b32 s39, v8
	s_cmp_ge_u32 s39, s10
	s_cselect_b32 s39, -1, 0
	s_cmp_eq_u32 s35, 0
	s_cselect_b32 s35, s39, -1
	s_cmp_lg_u32 s35, 0
	s_cselect_b32 s37, s37, s36
	s_cselect_b32 s36, s40, s34
	s_cbranch_execnz .LBB38_8
.LBB38_7:                               ;   in Loop: Header=BB38_4 Depth=1
	v_cvt_f32_u32_e32 v8, s10
	s_sub_i32 s34, 0, s10
	v_rcp_iflag_f32_e32 v8, v8
	v_mul_f32_e32 v8, 0x4f7ffffe, v8
	v_cvt_u32_f32_e32 v8, v8
	v_readfirstlane_b32 s35, v8
	s_mul_i32 s34, s34, s35
	s_mul_hi_u32 s34, s35, s34
	s_add_i32 s35, s35, s34
	s_mul_hi_u32 s34, s38, s35
	s_mul_i32 s36, s34, s10
	s_sub_i32 s36, s38, s36
	s_add_i32 s35, s34, 1
	s_sub_i32 s37, s36, s10
	s_cmp_ge_u32 s36, s10
	s_cselect_b32 s34, s35, s34
	s_cselect_b32 s36, s37, s36
	s_add_i32 s35, s34, 1
	s_cmp_ge_u32 s36, s10
	s_cselect_b32 s36, s35, s34
	s_mov_b32 s37, s11
.LBB38_8:                               ;   in Loop: Header=BB38_4 Depth=1
	s_mul_i32 s34, s26, s17
	s_mul_hi_u32 s35, s26, s16
	s_add_i32 s34, s35, s34
	s_mul_i32 s35, s27, s16
	s_add_i32 s35, s34, s35
	s_and_b64 s[2:3], s[2:3], exec
	s_cselect_b32 s2, 2, 1
	s_add_u32 s36, s2, s36
	s_addc_u32 s37, 0, s37
	v_cmp_gt_u64_e64 s[38:39], s[36:37], 1
	s_mul_i32 s34, s26, s16
	s_mov_b64 s[2:3], -1
	s_and_b64 vcc, exec, s[38:39]
	s_mov_b64 s[40:41], s[8:9]
	s_cbranch_vccz .LBB38_12
; %bb.9:                                ;   in Loop: Header=BB38_4 Depth=1
	s_and_b32 s38, s36, -2
	s_add_u32 s65, s8, s10
	s_mov_b32 s39, s37
	s_addc_u32 s66, 0, 0
	s_lshl_b64 s[40:41], s[10:11], 1
	s_mov_b32 s67, s33
	s_mov_b32 s68, s44
	;; [unrolled: 1-line block ×6, first 2 shown]
	s_mov_b64 s[42:43], s[38:39]
.LBB38_10:                              ;   Parent Loop BB38_4 Depth=1
                                        ; =>  This Inner Loop Header: Depth=2
	s_mul_hi_u32 s2, s67, s45
	s_mul_hi_u32 s3, s65, s46
	s_mul_i32 s73, s65, s59
	s_mul_hi_u32 s74, s65, s58
	s_mul_i32 s76, s67, s57
	s_mul_hi_u32 s77, s67, s56
	s_add_i32 s3, s3, s65
	s_add_i32 s2, s2, s67
	s_mul_i32 s75, s66, s58
	s_add_i32 s73, s74, s73
	s_add_i32 s74, s77, s76
	s_lshr_b32 s76, s2, s47
	s_lshr_b32 s2, s3, s48
	s_mul_i32 s78, s68, s56
	s_add_i32 s73, s73, s75
	s_mul_i32 s3, s2, s49
	s_mul_i32 s75, s76, s14
	s_add_i32 s82, s74, s78
	s_mul_i32 s77, s51, s2
	s_mul_hi_u32 s78, s50, s2
	s_mul_i32 s79, s31, s76
	s_mul_hi_u32 s83, s30, s76
	s_mul_i32 s74, s30, s76
	s_sub_i32 s84, s67, s75
	s_sub_i32 s76, s65, s3
	s_add_i32 s3, s78, s77
	s_add_i32 s75, s83, s79
	s_mul_i32 s77, s55, s76
	s_mul_hi_u32 s79, s54, s76
	s_mul_i32 s83, s53, s84
	s_mul_hi_u32 s85, s52, s84
	s_mul_i32 s81, s67, s56
	s_add_i32 s77, s79, s77
	s_add_i32 s79, s85, s83
	s_mul_i32 s78, s52, s84
	s_add_u32 s84, s81, s26
	s_mul_i32 s80, s65, s58
	s_addc_u32 s81, s82, s27
	s_add_u32 s85, s80, s71
	s_mul_i32 s82, s84, s61
	s_mul_hi_u32 s83, s84, s60
	s_addc_u32 s73, s73, s72
	s_mul_i32 s80, s85, s63
	s_mul_hi_u32 s86, s85, s62
	s_mul_i32 s81, s81, s60
	s_add_i32 s82, s83, s82
	s_add_i32 s80, s86, s80
	s_mul_i32 s73, s73, s62
	s_lshl_b64 s[74:75], s[74:75], 2
	s_add_i32 s81, s82, s81
	s_add_i32 s83, s80, s73
	s_mul_i32 s2, s50, s2
	s_add_u32 s73, s24, s74
	s_addc_u32 s74, s25, s75
	s_lshl_b64 s[2:3], s[2:3], 2
	s_add_u32 s75, s24, s2
	s_addc_u32 s80, s25, s3
	s_lshl_b64 s[2:3], s[78:79], 2
	s_mul_i32 s76, s54, s76
	s_add_u32 s73, s73, s2
	s_addc_u32 s74, s74, s3
	s_lshl_b64 s[2:3], s[76:77], 2
	s_add_u32 s75, s75, s2
	s_addc_u32 s76, s80, s3
	s_lshl_b64 s[2:3], s[34:35], 2
	s_add_u32 s73, s73, s2
	s_addc_u32 s74, s74, s3
	s_add_u32 s2, s75, s2
	v_mov_b32_e32 v9, s74
	v_add_co_u32_e32 v8, vcc, s73, v2
	s_addc_u32 s3, s76, s3
	v_addc_co_u32_e32 v9, vcc, v9, v3, vcc
	v_mov_b32_e32 v11, s3
	global_load_dword v14, v[8:9], off
	v_add_co_u32_e32 v8, vcc, s2, v2
	v_addc_co_u32_e32 v9, vcc, v11, v3, vcc
	global_load_dword v11, v[8:9], off
	s_mul_i32 s80, s84, s60
	s_mul_i32 s82, s85, s62
	s_lshl_b64 s[2:3], s[80:81], 1
	s_lshl_b64 s[74:75], s[82:83], 1
	s_add_u32 s65, s65, s69
	s_addc_u32 s66, s66, s70
	s_add_u32 s67, s67, s40
	s_addc_u32 s68, s68, s41
	s_add_u32 s42, s42, -2
	v_mov_b32_e32 v9, s3
	v_add_co_u32_e64 v12, s[2:3], s2, v0
	s_addc_u32 s43, s43, -1
	v_mov_b32_e32 v15, s75
	v_add_co_u32_e32 v8, vcc, s74, v0
	v_addc_co_u32_e64 v13, s[2:3], v1, v9, s[2:3]
	s_cmp_lg_u64 s[42:43], 0
	v_addc_co_u32_e32 v9, vcc, v1, v15, vcc
	s_waitcnt vmcnt(1)
	v_cvt_f16_f32_e32 v14, v14
	s_waitcnt vmcnt(0)
	v_cvt_f16_f32_e32 v11, v11
	global_store_short v[12:13], v14, off
	global_store_short v[8:9], v11, off
	s_cbranch_scc1 .LBB38_10
; %bb.11:                               ;   in Loop: Header=BB38_4 Depth=1
	s_mul_i32 s2, s39, s10
	s_mul_hi_u32 s3, s38, s10
	s_add_i32 s3, s3, s2
	s_mul_i32 s2, s38, s10
	s_add_u32 s40, s2, s8
	s_addc_u32 s41, s3, 0
	s_cmp_lg_u64 s[36:37], s[38:39]
	s_cselect_b64 s[2:3], -1, 0
.LBB38_12:                              ;   in Loop: Header=BB38_4 Depth=1
	s_and_b64 vcc, exec, s[2:3]
	s_cbranch_vccz .LBB38_3
; %bb.13:                               ;   in Loop: Header=BB38_4 Depth=1
	s_mul_i32 s2, s22, s41
	s_mul_hi_u32 s3, s22, s40
	s_add_i32 s2, s3, s2
	s_mul_i32 s3, s23, s40
	s_add_i32 s2, s2, s3
	s_mul_i32 s3, s22, s40
	s_add_u32 s3, s26, s3
	s_addc_u32 s2, s27, s2
	s_mul_i32 s36, s5, s3
	s_mul_i32 s2, s4, s2
	v_mov_b32_e32 v8, s3
	s_add_i32 s36, s2, s36
	v_mad_u64_u32 v[8:9], s[2:3], s4, v8, v[0:1]
	s_mul_i32 s2, s21, s10
	s_mul_hi_u32 s3, s20, s10
	s_add_i32 s2, s3, s2
	v_add_u32_e32 v9, s36, v9
	s_mul_i32 s36, s20, s10
	v_mov_b32_e32 v11, s2
.LBB38_14:                              ;   Parent Loop BB38_4 Depth=1
                                        ; =>  This Inner Loop Header: Depth=2
	s_mul_hi_u32 s2, s12, s40
	s_add_i32 s2, s40, s2
	s_lshr_b32 s2, s2, s13
	s_mul_i32 s3, s64, s2
	s_mul_i32 s37, s2, s31
	s_mul_hi_u32 s38, s2, s30
	s_add_i32 s39, s40, s3
	s_mul_i32 s2, s2, s30
	s_add_i32 s3, s38, s37
	s_mul_i32 s37, s39, s19
	s_mul_hi_u32 s42, s39, s18
	s_mul_i32 s38, s39, s18
	s_lshl_b64 s[2:3], s[2:3], 2
	s_add_i32 s39, s42, s37
	s_add_u32 s37, s24, s2
	s_addc_u32 s42, s25, s3
	s_lshl_b64 s[2:3], s[38:39], 2
	s_add_u32 s37, s37, s2
	s_addc_u32 s38, s42, s3
	s_lshl_b64 s[2:3], s[34:35], 2
	s_add_u32 s2, s37, s2
	s_addc_u32 s3, s38, s3
	v_mov_b32_e32 v13, s3
	v_add_co_u32_e32 v12, vcc, s2, v2
	v_addc_co_u32_e32 v13, vcc, v13, v3, vcc
	global_load_dword v12, v[12:13], off
	s_add_u32 s40, s40, s10
	s_addc_u32 s41, s41, 0
	v_cmp_ge_i64_e32 vcc, s[40:41], v[6:7]
	s_and_b64 vcc, exec, vcc
	s_waitcnt vmcnt(0)
	v_cvt_f16_f32_e32 v12, v12
	global_store_short v[8:9], v12, off
	v_add_co_u32_e64 v8, s[2:3], s36, v8
	v_addc_co_u32_e64 v9, s[2:3], v9, v11, s[2:3]
	s_cbranch_vccz .LBB38_14
	s_branch .LBB38_3
.LBB38_15:                              ;   in Loop: Header=BB38_4 Depth=1
                                        ; implicit-def: $sgpr36_sgpr37
	s_branch .LBB38_7
.LBB38_16:
	s_endpgm
	.section	.rodata,"a",@progbits
	.p2align	6, 0x0
	.amdhsa_kernel _ZL13convert_unaryIf6__halfEvPKvPT0_lll15HIP_vector_typeIjLj3EElll
		.amdhsa_group_segment_fixed_size 0
		.amdhsa_private_segment_fixed_size 0
		.amdhsa_kernarg_size 336
		.amdhsa_user_sgpr_count 6
		.amdhsa_user_sgpr_private_segment_buffer 1
		.amdhsa_user_sgpr_dispatch_ptr 0
		.amdhsa_user_sgpr_queue_ptr 0
		.amdhsa_user_sgpr_kernarg_segment_ptr 1
		.amdhsa_user_sgpr_dispatch_id 0
		.amdhsa_user_sgpr_flat_scratch_init 0
		.amdhsa_user_sgpr_kernarg_preload_length 0
		.amdhsa_user_sgpr_kernarg_preload_offset 0
		.amdhsa_user_sgpr_private_segment_size 0
		.amdhsa_uses_dynamic_stack 0
		.amdhsa_system_sgpr_private_segment_wavefront_offset 0
		.amdhsa_system_sgpr_workgroup_id_x 1
		.amdhsa_system_sgpr_workgroup_id_y 1
		.amdhsa_system_sgpr_workgroup_id_z 1
		.amdhsa_system_sgpr_workgroup_info 0
		.amdhsa_system_vgpr_workitem_id 0
		.amdhsa_next_free_vgpr 16
		.amdhsa_next_free_sgpr 87
		.amdhsa_accum_offset 16
		.amdhsa_reserve_vcc 1
		.amdhsa_reserve_flat_scratch 0
		.amdhsa_float_round_mode_32 0
		.amdhsa_float_round_mode_16_64 0
		.amdhsa_float_denorm_mode_32 3
		.amdhsa_float_denorm_mode_16_64 3
		.amdhsa_dx10_clamp 1
		.amdhsa_ieee_mode 1
		.amdhsa_fp16_overflow 0
		.amdhsa_tg_split 0
		.amdhsa_exception_fp_ieee_invalid_op 0
		.amdhsa_exception_fp_denorm_src 0
		.amdhsa_exception_fp_ieee_div_zero 0
		.amdhsa_exception_fp_ieee_overflow 0
		.amdhsa_exception_fp_ieee_underflow 0
		.amdhsa_exception_fp_ieee_inexact 0
		.amdhsa_exception_int_div_zero 0
	.end_amdhsa_kernel
	.section	.text._ZL13convert_unaryIf6__halfEvPKvPT0_lll15HIP_vector_typeIjLj3EElll,"axG",@progbits,_ZL13convert_unaryIf6__halfEvPKvPT0_lll15HIP_vector_typeIjLj3EElll,comdat
.Lfunc_end38:
	.size	_ZL13convert_unaryIf6__halfEvPKvPT0_lll15HIP_vector_typeIjLj3EElll, .Lfunc_end38-_ZL13convert_unaryIf6__halfEvPKvPT0_lll15HIP_vector_typeIjLj3EElll
                                        ; -- End function
	.section	.AMDGPU.csdata,"",@progbits
; Kernel info:
; codeLenInByte = 1824
; NumSgprs: 91
; NumVgprs: 16
; NumAgprs: 0
; TotalNumVgprs: 16
; ScratchSize: 0
; MemoryBound: 0
; FloatMode: 240
; IeeeMode: 1
; LDSByteSize: 0 bytes/workgroup (compile time only)
; SGPRBlocks: 11
; VGPRBlocks: 1
; NumSGPRsForWavesPerEU: 91
; NumVGPRsForWavesPerEU: 16
; AccumOffset: 16
; Occupancy: 8
; WaveLimiterHint : 0
; COMPUTE_PGM_RSRC2:SCRATCH_EN: 0
; COMPUTE_PGM_RSRC2:USER_SGPR: 6
; COMPUTE_PGM_RSRC2:TRAP_HANDLER: 0
; COMPUTE_PGM_RSRC2:TGID_X_EN: 1
; COMPUTE_PGM_RSRC2:TGID_Y_EN: 1
; COMPUTE_PGM_RSRC2:TGID_Z_EN: 1
; COMPUTE_PGM_RSRC2:TIDIG_COMP_CNT: 0
; COMPUTE_PGM_RSRC3_GFX90A:ACCUM_OFFSET: 3
; COMPUTE_PGM_RSRC3_GFX90A:TG_SPLIT: 0
	.section	.text._ZL16dequantize_blockILi128ELi1EXadL_ZL15dequantize_q1_0PKvliR15HIP_vector_typeIfLj2EEEE6__halfEvS1_PT2_lllS2_IjLj3EElll,"axG",@progbits,_ZL16dequantize_blockILi128ELi1EXadL_ZL15dequantize_q1_0PKvliR15HIP_vector_typeIfLj2EEEE6__halfEvS1_PT2_lllS2_IjLj3EElll,comdat
	.globl	_ZL16dequantize_blockILi128ELi1EXadL_ZL15dequantize_q1_0PKvliR15HIP_vector_typeIfLj2EEEE6__halfEvS1_PT2_lllS2_IjLj3EElll ; -- Begin function _ZL16dequantize_blockILi128ELi1EXadL_ZL15dequantize_q1_0PKvliR15HIP_vector_typeIfLj2EEEE6__halfEvS1_PT2_lllS2_IjLj3EElll
	.p2align	8
	.type	_ZL16dequantize_blockILi128ELi1EXadL_ZL15dequantize_q1_0PKvliR15HIP_vector_typeIfLj2EEEE6__halfEvS1_PT2_lllS2_IjLj3EElll,@function
_ZL16dequantize_blockILi128ELi1EXadL_ZL15dequantize_q1_0PKvliR15HIP_vector_typeIfLj2EEEE6__halfEvS1_PT2_lllS2_IjLj3EElll: ; @_ZL16dequantize_blockILi128ELi1EXadL_ZL15dequantize_q1_0PKvliR15HIP_vector_typeIfLj2EEEE6__halfEvS1_PT2_lllS2_IjLj3EElll
; %bb.0:
	s_mov_b32 s10, s7
	s_load_dword s7, s[4:5], 0x5c
	s_load_dwordx4 s[0:3], s[4:5], 0x10
	s_add_u32 s24, s4, 0x50
	s_addc_u32 s25, s5, 0
	v_mov_b32_e32 v1, 0
	s_waitcnt lgkmcnt(0)
	s_and_b32 s9, s7, 0xffff
	v_mov_b32_e32 v2, s6
	v_mad_u64_u32 v[4:5], s[12:13], s9, v2, v[0:1]
	v_lshlrev_b64 v[8:9], 1, v[4:5]
	v_cmp_gt_i64_e32 vcc, s[0:1], v[8:9]
	s_and_saveexec_b64 s[12:13], vcc
	s_cbranch_execz .LBB39_7
; %bb.1:
	s_load_dwordx2 s[28:29], s[4:5], 0x20
	s_mov_b32 s11, 0
	v_pk_mov_b32 v[2:3], s[2:3], s[2:3] op_sel:[0,1]
	v_cmp_ge_i64_e32 vcc, s[10:11], v[2:3]
	s_cbranch_vccnz .LBB39_7
; %bb.2:
	s_load_dwordx4 s[20:23], s[4:5], 0x0
	s_load_dwordx8 s[12:19], s[4:5], 0x28
	s_load_dwordx2 s[26:27], s[4:5], 0x48
	s_mul_i32 s4, s3, s8
	s_mul_hi_u32 s5, s2, s8
	s_add_i32 s5, s5, s4
	s_mul_i32 s4, s2, s8
	s_add_u32 s4, s4, s10
	s_addc_u32 s5, s5, 0
	s_mul_i32 s5, s0, s5
	s_waitcnt lgkmcnt(0)
	s_mul_hi_u32 s15, s0, s4
	s_add_i32 s5, s15, s5
	s_mul_i32 s15, s1, s4
	v_lshrrev_b64 v[4:5], 6, v[4:5]
	s_add_i32 s5, s5, s15
	s_mul_i32 s4, s0, s4
	s_lshl_b64 s[4:5], s[4:5], 1
	v_lshlrev_b64 v[10:11], 8, v[4:5]
	v_add_co_u32_e32 v9, vcc, s4, v10
	v_mov_b32_e32 v10, s7
	v_mad_legacy_u16 v0, s6, v10, v0
	v_pk_mov_b32 v[2:3], s[28:29], s[28:29] op_sel:[0,1]
	s_load_dword s28, s[24:25], 0x4
	v_mov_b32_e32 v7, s5
	v_and_b32_e32 v0, 63, v0
	v_addc_co_u32_e32 v7, vcc, v7, v11, vcc
	v_lshlrev_b32_e32 v0, 2, v0
	v_add_co_u32_e32 v0, vcc, v9, v0
	v_addc_co_u32_e32 v7, vcc, 0, v7, vcc
	v_mov_b32_e32 v9, s23
	v_add_co_u32_e32 v10, vcc, s22, v0
	s_mov_b32 s9, s11
	v_addc_co_u32_e32 v11, vcc, v9, v7, vcc
	s_waitcnt lgkmcnt(0)
	s_mul_i32 s4, s1, s28
	s_mul_hi_u32 s5, s0, s28
	s_mul_i32 s1, s2, s1
	s_mul_hi_u32 s6, s2, s0
	s_add_i32 s5, s5, s4
	s_mul_i32 s4, s0, s28
	s_add_i32 s1, s6, s1
	s_mul_i32 s6, s3, s0
	v_cmp_lt_i64_e32 vcc, s[8:9], v[2:3]
	v_bfe_u32 v6, v8, 3, 4
	v_and_b32_e32 v8, 6, v8
	s_lshl_b64 s[4:5], s[4:5], 1
	s_add_i32 s1, s1, s6
	s_mul_i32 s0, s2, s0
	v_cndmask_b32_e64 v7, 0, 1, vcc
	v_or_b32_e32 v1, 1, v8
	s_lshl_b64 s[6:7], s[0:1], 1
	s_sub_i32 s22, 0, s14
	v_mov_b32_e32 v0, s5
	v_pk_mov_b32 v[12:13], s[2:3], s[2:3] op_sel:[0,1]
	v_cmp_ne_u32_e64 s[0:1], 1, v7
	s_branch .LBB39_4
.LBB39_3:                               ;   in Loop: Header=BB39_4 Depth=1
	s_add_u32 s10, s10, s28
	v_add_co_u32_e32 v10, vcc, s4, v10
	s_addc_u32 s11, s11, 0
	v_addc_co_u32_e32 v11, vcc, v11, v0, vcc
	v_cmp_ge_i64_e32 vcc, s[10:11], v[12:13]
	s_cbranch_vccnz .LBB39_7
.LBB39_4:                               ; =>This Loop Header: Depth=1
                                        ;     Child Loop BB39_6 Depth 2
	s_and_b64 vcc, exec, s[0:1]
	s_cbranch_vccnz .LBB39_3
; %bb.5:                                ;   in Loop: Header=BB39_4 Depth=1
	s_load_dword s5, s[24:25], 0x8
	s_mul_i32 s2, s10, s17
	s_mul_hi_u32 s3, s10, s16
	s_add_i32 s2, s3, s2
	s_mul_i32 s3, s11, s16
	s_add_i32 s23, s2, s3
	s_waitcnt lgkmcnt(0)
	s_mul_i32 s2, s7, s5
	s_mul_hi_u32 s3, s6, s5
	s_add_i32 s2, s3, s2
	s_mul_i32 s29, s10, s16
	s_mul_i32 s30, s6, s5
	v_mov_b32_e32 v7, s2
	v_pk_mov_b32 v[14:15], v[10:11], v[10:11] op_sel:[0,1]
	s_mov_b64 s[14:15], s[8:9]
.LBB39_6:                               ;   Parent Loop BB39_4 Depth=1
                                        ; =>  This Inner Loop Header: Depth=2
	s_mul_hi_u32 s2, s12, s14
	s_add_i32 s2, s14, s2
	s_lshr_b32 s2, s2, s13
	s_mul_i32 s34, s22, s2
	s_mul_i32 s35, s2, s27
	s_mul_hi_u32 s36, s2, s26
	s_mul_i32 s2, s2, s26
	s_add_i32 s34, s14, s34
	s_add_i32 s35, s36, s35
	s_mul_hi_u32 s36, s2, 18
	s_mul_i32 s37, s34, s19
	s_mul_hi_u32 s38, s34, s18
	s_mul_i32 s35, s35, 18
	s_mul_i32 s2, s2, 18
	;; [unrolled: 1-line block ×3, first 2 shown]
	s_add_i32 s37, s38, s37
	s_add_i32 s36, s36, s35
	s_mul_hi_u32 s35, s34, 18
	s_add_u32 s2, s20, s2
	s_mul_i32 s37, s37, 18
	s_mul_i32 s34, s34, 18
	s_addc_u32 s36, s21, s36
	s_add_i32 s35, s35, s37
	s_mul_i32 s3, s23, 18
	s_mul_hi_u32 s31, s29, 18
	s_add_u32 s2, s2, s34
	s_mul_i32 s33, s29, 18
	s_addc_u32 s34, s36, s35
	s_add_i32 s31, s31, s3
	s_add_u32 s2, s2, s33
	s_addc_u32 s3, s34, s31
	v_mad_u64_u32 v[16:17], s[2:3], v4, 18, s[2:3]
	v_mov_b32_e32 v18, v17
	v_mad_u64_u32 v[18:19], s[2:3], v5, 18, v[18:19]
	v_mov_b32_e32 v17, v18
	v_add_co_u32_e32 v18, vcc, v16, v6
	v_addc_co_u32_e32 v19, vcc, 0, v17, vcc
	global_load_ushort v9, v[16:17], off
	global_load_ubyte v20, v[18:19], off offset:2
	s_add_u32 s14, s14, s5
	s_addc_u32 s15, s15, 0
	v_cmp_ge_i64_e32 vcc, s[14:15], v[2:3]
	s_and_b64 vcc, exec, vcc
	s_waitcnt vmcnt(1)
	v_cvt_f32_f16_e32 v16, v9
	s_waitcnt vmcnt(0)
	v_lshrrev_b32_e32 v9, v1, v20
	v_lshrrev_b32_e32 v17, v8, v20
	v_lshlrev_b32_e32 v17, 1, v17
	v_lshlrev_b32_e32 v9, 1, v9
	v_and_b32_e32 v9, 2, v9
	v_and_b32_e32 v17, 2, v17
	v_add_u32_e32 v17, -1, v17
	v_add_u32_e32 v9, -1, v9
	v_cvt_f32_i32_e32 v19, v9
	v_cvt_f32_i32_e32 v18, v17
	v_pk_mul_f32 v[16:17], v[16:17], v[18:19] op_sel_hi:[0,1]
	v_cvt_f16_f32_e32 v9, v17
	v_cvt_f16_f32_e32 v16, v16
	v_pack_b32_f16 v9, v16, v9
	global_store_dword v[14:15], v9, off
	v_add_co_u32_e64 v14, s[2:3], s30, v14
	v_addc_co_u32_e64 v15, s[2:3], v15, v7, s[2:3]
	s_cbranch_vccz .LBB39_6
	s_branch .LBB39_3
.LBB39_7:
	s_endpgm
	.section	.rodata,"a",@progbits
	.p2align	6, 0x0
	.amdhsa_kernel _ZL16dequantize_blockILi128ELi1EXadL_ZL15dequantize_q1_0PKvliR15HIP_vector_typeIfLj2EEEE6__halfEvS1_PT2_lllS2_IjLj3EElll
		.amdhsa_group_segment_fixed_size 0
		.amdhsa_private_segment_fixed_size 0
		.amdhsa_kernarg_size 336
		.amdhsa_user_sgpr_count 6
		.amdhsa_user_sgpr_private_segment_buffer 1
		.amdhsa_user_sgpr_dispatch_ptr 0
		.amdhsa_user_sgpr_queue_ptr 0
		.amdhsa_user_sgpr_kernarg_segment_ptr 1
		.amdhsa_user_sgpr_dispatch_id 0
		.amdhsa_user_sgpr_flat_scratch_init 0
		.amdhsa_user_sgpr_kernarg_preload_length 0
		.amdhsa_user_sgpr_kernarg_preload_offset 0
		.amdhsa_user_sgpr_private_segment_size 0
		.amdhsa_uses_dynamic_stack 0
		.amdhsa_system_sgpr_private_segment_wavefront_offset 0
		.amdhsa_system_sgpr_workgroup_id_x 1
		.amdhsa_system_sgpr_workgroup_id_y 1
		.amdhsa_system_sgpr_workgroup_id_z 1
		.amdhsa_system_sgpr_workgroup_info 0
		.amdhsa_system_vgpr_workitem_id 0
		.amdhsa_next_free_vgpr 21
		.amdhsa_next_free_sgpr 39
		.amdhsa_accum_offset 24
		.amdhsa_reserve_vcc 1
		.amdhsa_reserve_flat_scratch 0
		.amdhsa_float_round_mode_32 0
		.amdhsa_float_round_mode_16_64 0
		.amdhsa_float_denorm_mode_32 3
		.amdhsa_float_denorm_mode_16_64 3
		.amdhsa_dx10_clamp 1
		.amdhsa_ieee_mode 1
		.amdhsa_fp16_overflow 0
		.amdhsa_tg_split 0
		.amdhsa_exception_fp_ieee_invalid_op 0
		.amdhsa_exception_fp_denorm_src 0
		.amdhsa_exception_fp_ieee_div_zero 0
		.amdhsa_exception_fp_ieee_overflow 0
		.amdhsa_exception_fp_ieee_underflow 0
		.amdhsa_exception_fp_ieee_inexact 0
		.amdhsa_exception_int_div_zero 0
	.end_amdhsa_kernel
	.section	.text._ZL16dequantize_blockILi128ELi1EXadL_ZL15dequantize_q1_0PKvliR15HIP_vector_typeIfLj2EEEE6__halfEvS1_PT2_lllS2_IjLj3EElll,"axG",@progbits,_ZL16dequantize_blockILi128ELi1EXadL_ZL15dequantize_q1_0PKvliR15HIP_vector_typeIfLj2EEEE6__halfEvS1_PT2_lllS2_IjLj3EElll,comdat
.Lfunc_end39:
	.size	_ZL16dequantize_blockILi128ELi1EXadL_ZL15dequantize_q1_0PKvliR15HIP_vector_typeIfLj2EEEE6__halfEvS1_PT2_lllS2_IjLj3EElll, .Lfunc_end39-_ZL16dequantize_blockILi128ELi1EXadL_ZL15dequantize_q1_0PKvliR15HIP_vector_typeIfLj2EEEE6__halfEvS1_PT2_lllS2_IjLj3EElll
                                        ; -- End function
	.section	.AMDGPU.csdata,"",@progbits
; Kernel info:
; codeLenInByte = 784
; NumSgprs: 43
; NumVgprs: 21
; NumAgprs: 0
; TotalNumVgprs: 21
; ScratchSize: 0
; MemoryBound: 0
; FloatMode: 240
; IeeeMode: 1
; LDSByteSize: 0 bytes/workgroup (compile time only)
; SGPRBlocks: 5
; VGPRBlocks: 2
; NumSGPRsForWavesPerEU: 43
; NumVGPRsForWavesPerEU: 21
; AccumOffset: 24
; Occupancy: 8
; WaveLimiterHint : 0
; COMPUTE_PGM_RSRC2:SCRATCH_EN: 0
; COMPUTE_PGM_RSRC2:USER_SGPR: 6
; COMPUTE_PGM_RSRC2:TRAP_HANDLER: 0
; COMPUTE_PGM_RSRC2:TGID_X_EN: 1
; COMPUTE_PGM_RSRC2:TGID_Y_EN: 1
; COMPUTE_PGM_RSRC2:TGID_Z_EN: 1
; COMPUTE_PGM_RSRC2:TIDIG_COMP_CNT: 0
; COMPUTE_PGM_RSRC3_GFX90A:ACCUM_OFFSET: 5
; COMPUTE_PGM_RSRC3_GFX90A:TG_SPLIT: 0
	.section	.text._ZL16dequantize_blockILi32ELi2EXadL_ZL15dequantize_q4_0PKvliR15HIP_vector_typeIfLj2EEEE6__halfEvS1_PT2_lllS2_IjLj3EElll,"axG",@progbits,_ZL16dequantize_blockILi32ELi2EXadL_ZL15dequantize_q4_0PKvliR15HIP_vector_typeIfLj2EEEE6__halfEvS1_PT2_lllS2_IjLj3EElll,comdat
	.globl	_ZL16dequantize_blockILi32ELi2EXadL_ZL15dequantize_q4_0PKvliR15HIP_vector_typeIfLj2EEEE6__halfEvS1_PT2_lllS2_IjLj3EElll ; -- Begin function _ZL16dequantize_blockILi32ELi2EXadL_ZL15dequantize_q4_0PKvliR15HIP_vector_typeIfLj2EEEE6__halfEvS1_PT2_lllS2_IjLj3EElll
	.p2align	8
	.type	_ZL16dequantize_blockILi32ELi2EXadL_ZL15dequantize_q4_0PKvliR15HIP_vector_typeIfLj2EEEE6__halfEvS1_PT2_lllS2_IjLj3EElll,@function
_ZL16dequantize_blockILi32ELi2EXadL_ZL15dequantize_q4_0PKvliR15HIP_vector_typeIfLj2EEEE6__halfEvS1_PT2_lllS2_IjLj3EElll: ; @_ZL16dequantize_blockILi32ELi2EXadL_ZL15dequantize_q4_0PKvliR15HIP_vector_typeIfLj2EEEE6__halfEvS1_PT2_lllS2_IjLj3EElll
; %bb.0:
	s_mov_b32 s10, s7
	s_load_dword s7, s[4:5], 0x5c
	s_load_dwordx4 s[0:3], s[4:5], 0x10
	s_add_u32 s24, s4, 0x50
	s_addc_u32 s25, s5, 0
	v_mov_b32_e32 v1, 0
	s_waitcnt lgkmcnt(0)
	s_and_b32 s7, s7, 0xffff
	v_mov_b32_e32 v2, s6
	v_mad_u64_u32 v[4:5], s[6:7], s7, v2, v[0:1]
	v_lshlrev_b64 v[0:1], 1, v[4:5]
	v_cmp_gt_i64_e32 vcc, s[0:1], v[0:1]
	s_and_saveexec_b64 s[6:7], vcc
	s_cbranch_execz .LBB40_7
; %bb.1:
	s_load_dwordx2 s[26:27], s[4:5], 0x20
	s_mov_b32 s11, 0
	v_pk_mov_b32 v[0:1], s[2:3], s[2:3] op_sel:[0,1]
	v_cmp_ge_i64_e32 vcc, s[10:11], v[0:1]
	s_cbranch_vccnz .LBB40_7
; %bb.2:
	s_load_dwordx4 s[20:23], s[4:5], 0x0
	s_load_dwordx8 s[12:19], s[4:5], 0x28
	s_load_dwordx2 s[6:7], s[4:5], 0x48
	s_mul_i32 s4, s3, s8
	s_mul_hi_u32 s5, s2, s8
	s_add_i32 s5, s5, s4
	s_mul_i32 s4, s2, s8
	s_add_u32 s4, s4, s10
	s_addc_u32 s5, s5, 0
	s_mul_i32 s5, s0, s5
	s_waitcnt lgkmcnt(0)
	s_mul_hi_u32 s15, s0, s4
	s_add_i32 s5, s15, s5
	s_mul_i32 s15, s1, s4
	v_lshrrev_b64 v[2:3], 4, v[4:5]
	s_add_i32 s5, s5, s15
	s_mul_i32 s4, s0, s4
	s_lshl_b64 s[4:5], s[4:5], 1
	v_lshlrev_b64 v[6:7], 6, v[2:3]
	v_and_b32_e32 v4, 15, v4
	v_mov_b32_e32 v5, s5
	v_add_co_u32_e32 v6, vcc, s4, v6
	v_addc_co_u32_e32 v5, vcc, v5, v7, vcc
	v_lshlrev_b32_e32 v7, 1, v4
	v_pk_mov_b32 v[0:1], s[26:27], s[26:27] op_sel:[0,1]
	s_load_dword s26, s[24:25], 0x4
	v_add_co_u32_e32 v6, vcc, v6, v7
	v_addc_co_u32_e32 v5, vcc, 0, v5, vcc
	v_mov_b32_e32 v7, s23
	v_add_co_u32_e32 v6, vcc, s22, v6
	v_addc_co_u32_e32 v5, vcc, v5, v7, vcc
	v_add_co_u32_e32 v6, vcc, 32, v6
	s_mov_b32 s9, s11
	v_addc_co_u32_e32 v7, vcc, 0, v5, vcc
	s_waitcnt lgkmcnt(0)
	s_mul_i32 s4, s1, s26
	s_mul_hi_u32 s5, s0, s26
	s_mul_i32 s1, s2, s1
	s_mul_hi_u32 s15, s2, s0
	s_add_i32 s5, s5, s4
	s_mul_i32 s4, s0, s26
	s_add_i32 s1, s15, s1
	s_mul_i32 s15, s3, s0
	v_cmp_lt_i64_e32 vcc, s[8:9], v[0:1]
	s_lshl_b64 s[4:5], s[4:5], 1
	s_add_i32 s1, s1, s15
	s_mul_i32 s0, s2, s0
	v_cndmask_b32_e64 v10, 0, 1, vcc
	s_lshl_b64 s[22:23], s[0:1], 1
	s_sub_i32 s27, 0, s14
	v_mov_b32_e32 v5, s5
	v_pk_mov_b32 v[8:9], s[2:3], s[2:3] op_sel:[0,1]
	v_cmp_ne_u32_e64 s[0:1], 1, v10
	s_branch .LBB40_4
.LBB40_3:                               ;   in Loop: Header=BB40_4 Depth=1
	s_add_u32 s10, s10, s26
	v_add_co_u32_e32 v6, vcc, s4, v6
	s_addc_u32 s11, s11, 0
	v_addc_co_u32_e32 v7, vcc, v7, v5, vcc
	v_cmp_ge_i64_e32 vcc, s[10:11], v[8:9]
	s_cbranch_vccnz .LBB40_7
.LBB40_4:                               ; =>This Loop Header: Depth=1
                                        ;     Child Loop BB40_6 Depth 2
	s_and_b64 vcc, exec, s[0:1]
	s_cbranch_vccnz .LBB40_3
; %bb.5:                                ;   in Loop: Header=BB40_4 Depth=1
	s_load_dword s5, s[24:25], 0x8
	s_mul_i32 s2, s10, s17
	s_mul_hi_u32 s3, s10, s16
	s_add_i32 s2, s3, s2
	s_mul_i32 s3, s11, s16
	s_add_i32 s28, s2, s3
	s_waitcnt lgkmcnt(0)
	s_mul_i32 s2, s23, s5
	s_mul_hi_u32 s3, s22, s5
	s_add_i32 s2, s3, s2
	s_mul_i32 s29, s10, s16
	s_mul_i32 s30, s22, s5
	v_mov_b32_e32 v12, s2
	v_pk_mov_b32 v[10:11], v[6:7], v[6:7] op_sel:[0,1]
	s_mov_b64 s[14:15], s[8:9]
.LBB40_6:                               ;   Parent Loop BB40_4 Depth=1
                                        ; =>  This Inner Loop Header: Depth=2
	s_mul_hi_u32 s2, s12, s14
	s_add_i32 s2, s14, s2
	s_lshr_b32 s2, s2, s13
	s_mul_i32 s34, s27, s2
	s_mul_i32 s35, s2, s7
	s_mul_hi_u32 s36, s2, s6
	s_mul_i32 s2, s2, s6
	s_add_i32 s34, s14, s34
	s_add_i32 s35, s36, s35
	s_mul_hi_u32 s36, s2, 18
	s_mul_i32 s37, s34, s19
	s_mul_hi_u32 s38, s34, s18
	s_mul_i32 s35, s35, 18
	s_mul_i32 s2, s2, 18
	;; [unrolled: 1-line block ×3, first 2 shown]
	s_add_i32 s37, s38, s37
	s_add_i32 s36, s36, s35
	s_mul_hi_u32 s35, s34, 18
	s_add_u32 s2, s20, s2
	s_mul_i32 s37, s37, 18
	s_mul_i32 s34, s34, 18
	s_addc_u32 s36, s21, s36
	s_add_i32 s35, s35, s37
	s_mul_i32 s3, s28, 18
	s_mul_hi_u32 s31, s29, 18
	s_add_u32 s2, s2, s34
	s_mul_i32 s33, s29, 18
	s_addc_u32 s34, s36, s35
	s_add_i32 s31, s31, s3
	s_add_u32 s2, s2, s33
	s_addc_u32 s3, s34, s31
	v_mad_u64_u32 v[14:15], s[2:3], v2, 18, s[2:3]
	v_mov_b32_e32 v16, v15
	v_mad_u64_u32 v[16:17], s[2:3], v3, 18, v[16:17]
	v_mov_b32_e32 v15, v16
	v_add_co_u32_e32 v16, vcc, v14, v4
	v_addc_co_u32_e32 v17, vcc, 0, v15, vcc
	global_load_ushort v13, v[14:15], off
	global_load_ubyte v18, v[16:17], off offset:2
	s_add_u32 s14, s14, s5
	s_addc_u32 s15, s15, 0
	v_cmp_ge_i64_e32 vcc, s[14:15], v[0:1]
	s_and_b64 vcc, exec, vcc
	s_waitcnt vmcnt(0)
	v_and_b32_e32 v14, 15, v18
	v_lshrrev_b32_e32 v15, 4, v18
	v_add_u32_e32 v14, -8, v14
	v_add_u32_e32 v15, -8, v15
	v_cvt_f32_i32_e32 v14, v14
	v_cvt_f32_i32_e32 v15, v15
	v_fma_mixlo_f16 v14, v13, v14, 0 op_sel_hi:[1,0,0]
	v_fma_mixlo_f16 v13, v13, v15, 0 op_sel_hi:[1,0,0]
	global_store_short v[10:11], v14, off offset:-32
	global_store_short v[10:11], v13, off
	v_add_co_u32_e64 v10, s[2:3], s30, v10
	v_addc_co_u32_e64 v11, s[2:3], v11, v12, s[2:3]
	s_cbranch_vccz .LBB40_6
	s_branch .LBB40_3
.LBB40_7:
	s_endpgm
	.section	.rodata,"a",@progbits
	.p2align	6, 0x0
	.amdhsa_kernel _ZL16dequantize_blockILi32ELi2EXadL_ZL15dequantize_q4_0PKvliR15HIP_vector_typeIfLj2EEEE6__halfEvS1_PT2_lllS2_IjLj3EElll
		.amdhsa_group_segment_fixed_size 0
		.amdhsa_private_segment_fixed_size 0
		.amdhsa_kernarg_size 336
		.amdhsa_user_sgpr_count 6
		.amdhsa_user_sgpr_private_segment_buffer 1
		.amdhsa_user_sgpr_dispatch_ptr 0
		.amdhsa_user_sgpr_queue_ptr 0
		.amdhsa_user_sgpr_kernarg_segment_ptr 1
		.amdhsa_user_sgpr_dispatch_id 0
		.amdhsa_user_sgpr_flat_scratch_init 0
		.amdhsa_user_sgpr_kernarg_preload_length 0
		.amdhsa_user_sgpr_kernarg_preload_offset 0
		.amdhsa_user_sgpr_private_segment_size 0
		.amdhsa_uses_dynamic_stack 0
		.amdhsa_system_sgpr_private_segment_wavefront_offset 0
		.amdhsa_system_sgpr_workgroup_id_x 1
		.amdhsa_system_sgpr_workgroup_id_y 1
		.amdhsa_system_sgpr_workgroup_id_z 1
		.amdhsa_system_sgpr_workgroup_info 0
		.amdhsa_system_vgpr_workitem_id 0
		.amdhsa_next_free_vgpr 19
		.amdhsa_next_free_sgpr 39
		.amdhsa_accum_offset 20
		.amdhsa_reserve_vcc 1
		.amdhsa_reserve_flat_scratch 0
		.amdhsa_float_round_mode_32 0
		.amdhsa_float_round_mode_16_64 0
		.amdhsa_float_denorm_mode_32 3
		.amdhsa_float_denorm_mode_16_64 3
		.amdhsa_dx10_clamp 1
		.amdhsa_ieee_mode 1
		.amdhsa_fp16_overflow 0
		.amdhsa_tg_split 0
		.amdhsa_exception_fp_ieee_invalid_op 0
		.amdhsa_exception_fp_denorm_src 0
		.amdhsa_exception_fp_ieee_div_zero 0
		.amdhsa_exception_fp_ieee_overflow 0
		.amdhsa_exception_fp_ieee_underflow 0
		.amdhsa_exception_fp_ieee_inexact 0
		.amdhsa_exception_int_div_zero 0
	.end_amdhsa_kernel
	.section	.text._ZL16dequantize_blockILi32ELi2EXadL_ZL15dequantize_q4_0PKvliR15HIP_vector_typeIfLj2EEEE6__halfEvS1_PT2_lllS2_IjLj3EElll,"axG",@progbits,_ZL16dequantize_blockILi32ELi2EXadL_ZL15dequantize_q4_0PKvliR15HIP_vector_typeIfLj2EEEE6__halfEvS1_PT2_lllS2_IjLj3EElll,comdat
.Lfunc_end40:
	.size	_ZL16dequantize_blockILi32ELi2EXadL_ZL15dequantize_q4_0PKvliR15HIP_vector_typeIfLj2EEEE6__halfEvS1_PT2_lllS2_IjLj3EElll, .Lfunc_end40-_ZL16dequantize_blockILi32ELi2EXadL_ZL15dequantize_q4_0PKvliR15HIP_vector_typeIfLj2EEEE6__halfEvS1_PT2_lllS2_IjLj3EElll
                                        ; -- End function
	.section	.AMDGPU.csdata,"",@progbits
; Kernel info:
; codeLenInByte = 740
; NumSgprs: 43
; NumVgprs: 19
; NumAgprs: 0
; TotalNumVgprs: 19
; ScratchSize: 0
; MemoryBound: 0
; FloatMode: 240
; IeeeMode: 1
; LDSByteSize: 0 bytes/workgroup (compile time only)
; SGPRBlocks: 5
; VGPRBlocks: 2
; NumSGPRsForWavesPerEU: 43
; NumVGPRsForWavesPerEU: 19
; AccumOffset: 20
; Occupancy: 8
; WaveLimiterHint : 0
; COMPUTE_PGM_RSRC2:SCRATCH_EN: 0
; COMPUTE_PGM_RSRC2:USER_SGPR: 6
; COMPUTE_PGM_RSRC2:TRAP_HANDLER: 0
; COMPUTE_PGM_RSRC2:TGID_X_EN: 1
; COMPUTE_PGM_RSRC2:TGID_Y_EN: 1
; COMPUTE_PGM_RSRC2:TGID_Z_EN: 1
; COMPUTE_PGM_RSRC2:TIDIG_COMP_CNT: 0
; COMPUTE_PGM_RSRC3_GFX90A:ACCUM_OFFSET: 4
; COMPUTE_PGM_RSRC3_GFX90A:TG_SPLIT: 0
	.section	.text._ZL16dequantize_blockILi32ELi2EXadL_ZL15dequantize_q4_1PKvliR15HIP_vector_typeIfLj2EEEE6__halfEvS1_PT2_lllS2_IjLj3EElll,"axG",@progbits,_ZL16dequantize_blockILi32ELi2EXadL_ZL15dequantize_q4_1PKvliR15HIP_vector_typeIfLj2EEEE6__halfEvS1_PT2_lllS2_IjLj3EElll,comdat
	.globl	_ZL16dequantize_blockILi32ELi2EXadL_ZL15dequantize_q4_1PKvliR15HIP_vector_typeIfLj2EEEE6__halfEvS1_PT2_lllS2_IjLj3EElll ; -- Begin function _ZL16dequantize_blockILi32ELi2EXadL_ZL15dequantize_q4_1PKvliR15HIP_vector_typeIfLj2EEEE6__halfEvS1_PT2_lllS2_IjLj3EElll
	.p2align	8
	.type	_ZL16dequantize_blockILi32ELi2EXadL_ZL15dequantize_q4_1PKvliR15HIP_vector_typeIfLj2EEEE6__halfEvS1_PT2_lllS2_IjLj3EElll,@function
_ZL16dequantize_blockILi32ELi2EXadL_ZL15dequantize_q4_1PKvliR15HIP_vector_typeIfLj2EEEE6__halfEvS1_PT2_lllS2_IjLj3EElll: ; @_ZL16dequantize_blockILi32ELi2EXadL_ZL15dequantize_q4_1PKvliR15HIP_vector_typeIfLj2EEEE6__halfEvS1_PT2_lllS2_IjLj3EElll
; %bb.0:
	s_mov_b32 s10, s7
	s_load_dword s7, s[4:5], 0x5c
	s_load_dwordx4 s[0:3], s[4:5], 0x10
	s_add_u32 s24, s4, 0x50
	s_addc_u32 s25, s5, 0
	v_mov_b32_e32 v1, 0
	s_waitcnt lgkmcnt(0)
	s_and_b32 s7, s7, 0xffff
	v_mov_b32_e32 v2, s6
	v_mad_u64_u32 v[4:5], s[6:7], s7, v2, v[0:1]
	v_lshlrev_b64 v[0:1], 1, v[4:5]
	v_cmp_gt_i64_e32 vcc, s[0:1], v[0:1]
	s_and_saveexec_b64 s[6:7], vcc
	s_cbranch_execz .LBB41_7
; %bb.1:
	s_load_dwordx2 s[26:27], s[4:5], 0x20
	s_mov_b32 s11, 0
	v_pk_mov_b32 v[0:1], s[2:3], s[2:3] op_sel:[0,1]
	v_cmp_ge_i64_e32 vcc, s[10:11], v[0:1]
	s_cbranch_vccnz .LBB41_7
; %bb.2:
	s_load_dwordx4 s[20:23], s[4:5], 0x0
	s_load_dwordx8 s[12:19], s[4:5], 0x28
	s_load_dwordx2 s[6:7], s[4:5], 0x48
	s_mul_i32 s4, s3, s8
	s_mul_hi_u32 s5, s2, s8
	s_add_i32 s5, s5, s4
	s_mul_i32 s4, s2, s8
	s_add_u32 s4, s4, s10
	s_addc_u32 s5, s5, 0
	s_mul_i32 s5, s0, s5
	s_waitcnt lgkmcnt(0)
	s_mul_hi_u32 s15, s0, s4
	s_add_i32 s5, s15, s5
	s_mul_i32 s15, s1, s4
	v_lshrrev_b64 v[2:3], 4, v[4:5]
	s_add_i32 s5, s5, s15
	s_mul_i32 s4, s0, s4
	s_lshl_b64 s[4:5], s[4:5], 1
	v_lshlrev_b64 v[6:7], 6, v[2:3]
	v_and_b32_e32 v4, 15, v4
	v_mov_b32_e32 v5, s5
	v_add_co_u32_e32 v6, vcc, s4, v6
	v_addc_co_u32_e32 v5, vcc, v5, v7, vcc
	v_lshlrev_b32_e32 v7, 1, v4
	v_pk_mov_b32 v[0:1], s[26:27], s[26:27] op_sel:[0,1]
	s_load_dword s26, s[24:25], 0x4
	v_add_co_u32_e32 v6, vcc, v6, v7
	v_addc_co_u32_e32 v5, vcc, 0, v5, vcc
	v_mov_b32_e32 v7, s23
	v_add_co_u32_e32 v6, vcc, s22, v6
	v_addc_co_u32_e32 v5, vcc, v5, v7, vcc
	v_add_co_u32_e32 v6, vcc, 32, v6
	s_mov_b32 s9, s11
	v_addc_co_u32_e32 v7, vcc, 0, v5, vcc
	s_waitcnt lgkmcnt(0)
	s_mul_i32 s4, s1, s26
	s_mul_hi_u32 s5, s0, s26
	s_mul_i32 s1, s2, s1
	s_mul_hi_u32 s15, s2, s0
	s_add_i32 s5, s5, s4
	s_mul_i32 s4, s0, s26
	s_add_i32 s1, s15, s1
	s_mul_i32 s15, s3, s0
	v_cmp_lt_i64_e32 vcc, s[8:9], v[0:1]
	s_lshl_b64 s[4:5], s[4:5], 1
	s_add_i32 s1, s1, s15
	s_mul_i32 s0, s2, s0
	v_cndmask_b32_e64 v10, 0, 1, vcc
	s_lshl_b64 s[22:23], s[0:1], 1
	s_sub_i32 s27, 0, s14
	v_mov_b32_e32 v5, s5
	v_pk_mov_b32 v[8:9], s[2:3], s[2:3] op_sel:[0,1]
	v_cmp_ne_u32_e64 s[0:1], 1, v10
	s_branch .LBB41_4
.LBB41_3:                               ;   in Loop: Header=BB41_4 Depth=1
	s_add_u32 s10, s10, s26
	v_add_co_u32_e32 v6, vcc, s4, v6
	s_addc_u32 s11, s11, 0
	v_addc_co_u32_e32 v7, vcc, v7, v5, vcc
	v_cmp_ge_i64_e32 vcc, s[10:11], v[8:9]
	s_cbranch_vccnz .LBB41_7
.LBB41_4:                               ; =>This Loop Header: Depth=1
                                        ;     Child Loop BB41_6 Depth 2
	s_and_b64 vcc, exec, s[0:1]
	s_cbranch_vccnz .LBB41_3
; %bb.5:                                ;   in Loop: Header=BB41_4 Depth=1
	s_load_dword s5, s[24:25], 0x8
	s_mul_i32 s2, s10, s17
	s_mul_hi_u32 s3, s10, s16
	s_add_i32 s2, s3, s2
	s_mul_i32 s3, s11, s16
	s_add_i32 s28, s2, s3
	s_waitcnt lgkmcnt(0)
	s_mul_i32 s2, s23, s5
	s_mul_hi_u32 s3, s22, s5
	s_add_i32 s2, s3, s2
	s_mul_i32 s29, s10, s16
	s_mul_i32 s30, s22, s5
	v_mov_b32_e32 v12, s2
	v_pk_mov_b32 v[10:11], v[6:7], v[6:7] op_sel:[0,1]
	s_mov_b64 s[14:15], s[8:9]
.LBB41_6:                               ;   Parent Loop BB41_4 Depth=1
                                        ; =>  This Inner Loop Header: Depth=2
	s_mul_hi_u32 s2, s12, s14
	s_add_i32 s2, s14, s2
	s_lshr_b32 s2, s2, s13
	s_mul_i32 s34, s27, s2
	s_mul_i32 s35, s2, s7
	s_mul_hi_u32 s36, s2, s6
	s_mul_i32 s2, s2, s6
	s_add_i32 s34, s14, s34
	s_add_i32 s35, s36, s35
	s_mul_hi_u32 s36, s2, 20
	s_mul_i32 s37, s34, s19
	s_mul_hi_u32 s38, s34, s18
	s_mul_i32 s35, s35, 20
	s_mul_i32 s2, s2, 20
	s_mul_i32 s34, s34, s18
	s_add_i32 s37, s38, s37
	s_add_i32 s36, s36, s35
	s_mul_hi_u32 s35, s34, 20
	s_add_u32 s2, s20, s2
	s_mul_i32 s37, s37, 20
	s_mul_i32 s34, s34, 20
	s_addc_u32 s36, s21, s36
	s_add_i32 s35, s35, s37
	s_mul_i32 s3, s28, 20
	s_mul_hi_u32 s31, s29, 20
	s_add_u32 s2, s2, s34
	s_mul_i32 s33, s29, 20
	s_addc_u32 s34, s36, s35
	s_add_i32 s31, s31, s3
	s_add_u32 s2, s2, s33
	s_addc_u32 s3, s34, s31
	v_mad_u64_u32 v[14:15], s[2:3], v2, 20, s[2:3]
	v_mov_b32_e32 v16, v15
	v_mad_u64_u32 v[16:17], s[2:3], v3, 20, v[16:17]
	v_mov_b32_e32 v15, v16
	v_add_co_u32_e32 v16, vcc, v14, v4
	v_addc_co_u32_e32 v17, vcc, 0, v15, vcc
	global_load_dword v13, v[14:15], off
	global_load_ubyte v18, v[16:17], off offset:4
	s_add_u32 s14, s14, s5
	s_addc_u32 s15, s15, 0
	v_cmp_ge_i64_e32 vcc, s[14:15], v[0:1]
	s_and_b64 vcc, exec, vcc
	s_waitcnt vmcnt(0)
	v_and_b32_e32 v14, 15, v18
	v_lshrrev_b32_e32 v15, 4, v18
	v_cvt_f32_ubyte0_e32 v14, v14
	v_cvt_f32_ubyte0_e32 v15, v15
	v_fma_mixlo_f16 v14, v13, v14, v13 op_sel:[0,0,1] op_sel_hi:[1,0,1]
	v_fma_mixlo_f16 v13, v13, v15, v13 op_sel:[0,0,1] op_sel_hi:[1,0,1]
	global_store_short v[10:11], v14, off offset:-32
	global_store_short v[10:11], v13, off
	v_add_co_u32_e64 v10, s[2:3], s30, v10
	v_addc_co_u32_e64 v11, s[2:3], v11, v12, s[2:3]
	s_cbranch_vccz .LBB41_6
	s_branch .LBB41_3
.LBB41_7:
	s_endpgm
	.section	.rodata,"a",@progbits
	.p2align	6, 0x0
	.amdhsa_kernel _ZL16dequantize_blockILi32ELi2EXadL_ZL15dequantize_q4_1PKvliR15HIP_vector_typeIfLj2EEEE6__halfEvS1_PT2_lllS2_IjLj3EElll
		.amdhsa_group_segment_fixed_size 0
		.amdhsa_private_segment_fixed_size 0
		.amdhsa_kernarg_size 336
		.amdhsa_user_sgpr_count 6
		.amdhsa_user_sgpr_private_segment_buffer 1
		.amdhsa_user_sgpr_dispatch_ptr 0
		.amdhsa_user_sgpr_queue_ptr 0
		.amdhsa_user_sgpr_kernarg_segment_ptr 1
		.amdhsa_user_sgpr_dispatch_id 0
		.amdhsa_user_sgpr_flat_scratch_init 0
		.amdhsa_user_sgpr_kernarg_preload_length 0
		.amdhsa_user_sgpr_kernarg_preload_offset 0
		.amdhsa_user_sgpr_private_segment_size 0
		.amdhsa_uses_dynamic_stack 0
		.amdhsa_system_sgpr_private_segment_wavefront_offset 0
		.amdhsa_system_sgpr_workgroup_id_x 1
		.amdhsa_system_sgpr_workgroup_id_y 1
		.amdhsa_system_sgpr_workgroup_id_z 1
		.amdhsa_system_sgpr_workgroup_info 0
		.amdhsa_system_vgpr_workitem_id 0
		.amdhsa_next_free_vgpr 19
		.amdhsa_next_free_sgpr 39
		.amdhsa_accum_offset 20
		.amdhsa_reserve_vcc 1
		.amdhsa_reserve_flat_scratch 0
		.amdhsa_float_round_mode_32 0
		.amdhsa_float_round_mode_16_64 0
		.amdhsa_float_denorm_mode_32 3
		.amdhsa_float_denorm_mode_16_64 3
		.amdhsa_dx10_clamp 1
		.amdhsa_ieee_mode 1
		.amdhsa_fp16_overflow 0
		.amdhsa_tg_split 0
		.amdhsa_exception_fp_ieee_invalid_op 0
		.amdhsa_exception_fp_denorm_src 0
		.amdhsa_exception_fp_ieee_div_zero 0
		.amdhsa_exception_fp_ieee_overflow 0
		.amdhsa_exception_fp_ieee_underflow 0
		.amdhsa_exception_fp_ieee_inexact 0
		.amdhsa_exception_int_div_zero 0
	.end_amdhsa_kernel
	.section	.text._ZL16dequantize_blockILi32ELi2EXadL_ZL15dequantize_q4_1PKvliR15HIP_vector_typeIfLj2EEEE6__halfEvS1_PT2_lllS2_IjLj3EElll,"axG",@progbits,_ZL16dequantize_blockILi32ELi2EXadL_ZL15dequantize_q4_1PKvliR15HIP_vector_typeIfLj2EEEE6__halfEvS1_PT2_lllS2_IjLj3EElll,comdat
.Lfunc_end41:
	.size	_ZL16dequantize_blockILi32ELi2EXadL_ZL15dequantize_q4_1PKvliR15HIP_vector_typeIfLj2EEEE6__halfEvS1_PT2_lllS2_IjLj3EElll, .Lfunc_end41-_ZL16dequantize_blockILi32ELi2EXadL_ZL15dequantize_q4_1PKvliR15HIP_vector_typeIfLj2EEEE6__halfEvS1_PT2_lllS2_IjLj3EElll
                                        ; -- End function
	.section	.AMDGPU.csdata,"",@progbits
; Kernel info:
; codeLenInByte = 732
; NumSgprs: 43
; NumVgprs: 19
; NumAgprs: 0
; TotalNumVgprs: 19
; ScratchSize: 0
; MemoryBound: 0
; FloatMode: 240
; IeeeMode: 1
; LDSByteSize: 0 bytes/workgroup (compile time only)
; SGPRBlocks: 5
; VGPRBlocks: 2
; NumSGPRsForWavesPerEU: 43
; NumVGPRsForWavesPerEU: 19
; AccumOffset: 20
; Occupancy: 8
; WaveLimiterHint : 0
; COMPUTE_PGM_RSRC2:SCRATCH_EN: 0
; COMPUTE_PGM_RSRC2:USER_SGPR: 6
; COMPUTE_PGM_RSRC2:TRAP_HANDLER: 0
; COMPUTE_PGM_RSRC2:TGID_X_EN: 1
; COMPUTE_PGM_RSRC2:TGID_Y_EN: 1
; COMPUTE_PGM_RSRC2:TGID_Z_EN: 1
; COMPUTE_PGM_RSRC2:TIDIG_COMP_CNT: 0
; COMPUTE_PGM_RSRC3_GFX90A:ACCUM_OFFSET: 4
; COMPUTE_PGM_RSRC3_GFX90A:TG_SPLIT: 0
	.section	.text._ZL16dequantize_blockILi32ELi2EXadL_ZL15dequantize_q5_0PKvliR15HIP_vector_typeIfLj2EEEE6__halfEvS1_PT2_lllS2_IjLj3EElll,"axG",@progbits,_ZL16dequantize_blockILi32ELi2EXadL_ZL15dequantize_q5_0PKvliR15HIP_vector_typeIfLj2EEEE6__halfEvS1_PT2_lllS2_IjLj3EElll,comdat
	.globl	_ZL16dequantize_blockILi32ELi2EXadL_ZL15dequantize_q5_0PKvliR15HIP_vector_typeIfLj2EEEE6__halfEvS1_PT2_lllS2_IjLj3EElll ; -- Begin function _ZL16dequantize_blockILi32ELi2EXadL_ZL15dequantize_q5_0PKvliR15HIP_vector_typeIfLj2EEEE6__halfEvS1_PT2_lllS2_IjLj3EElll
	.p2align	8
	.type	_ZL16dequantize_blockILi32ELi2EXadL_ZL15dequantize_q5_0PKvliR15HIP_vector_typeIfLj2EEEE6__halfEvS1_PT2_lllS2_IjLj3EElll,@function
_ZL16dequantize_blockILi32ELi2EXadL_ZL15dequantize_q5_0PKvliR15HIP_vector_typeIfLj2EEEE6__halfEvS1_PT2_lllS2_IjLj3EElll: ; @_ZL16dequantize_blockILi32ELi2EXadL_ZL15dequantize_q5_0PKvliR15HIP_vector_typeIfLj2EEEE6__halfEvS1_PT2_lllS2_IjLj3EElll
; %bb.0:
	s_mov_b32 s10, s7
	s_load_dword s7, s[4:5], 0x5c
	s_load_dwordx4 s[0:3], s[4:5], 0x10
	s_add_u32 s24, s4, 0x50
	s_addc_u32 s25, s5, 0
	v_mov_b32_e32 v1, 0
	s_waitcnt lgkmcnt(0)
	s_and_b32 s7, s7, 0xffff
	v_mov_b32_e32 v2, s6
	v_mad_u64_u32 v[4:5], s[6:7], s7, v2, v[0:1]
	v_lshlrev_b64 v[0:1], 1, v[4:5]
	v_cmp_gt_i64_e32 vcc, s[0:1], v[0:1]
	s_and_saveexec_b64 s[6:7], vcc
	s_cbranch_execz .LBB42_7
; %bb.1:
	s_load_dwordx2 s[26:27], s[4:5], 0x20
	s_mov_b32 s11, 0
	v_pk_mov_b32 v[0:1], s[2:3], s[2:3] op_sel:[0,1]
	v_cmp_ge_i64_e32 vcc, s[10:11], v[0:1]
	s_cbranch_vccnz .LBB42_7
; %bb.2:
	s_load_dwordx4 s[20:23], s[4:5], 0x0
	s_load_dwordx8 s[12:19], s[4:5], 0x28
	s_load_dwordx2 s[6:7], s[4:5], 0x48
	s_mul_i32 s4, s3, s8
	s_mul_hi_u32 s5, s2, s8
	s_add_i32 s5, s5, s4
	s_mul_i32 s4, s2, s8
	s_add_u32 s4, s4, s10
	s_addc_u32 s5, s5, 0
	s_mul_i32 s5, s0, s5
	s_waitcnt lgkmcnt(0)
	s_mul_hi_u32 s15, s0, s4
	s_add_i32 s5, s15, s5
	s_mul_i32 s15, s1, s4
	v_lshrrev_b64 v[2:3], 4, v[4:5]
	s_add_i32 s5, s5, s15
	s_mul_i32 s4, s0, s4
	v_pk_mov_b32 v[0:1], s[26:27], s[26:27] op_sel:[0,1]
	s_load_dword s26, s[24:25], 0x4
	s_lshl_b64 s[4:5], s[4:5], 1
	v_lshlrev_b64 v[6:7], 6, v[2:3]
	v_and_b32_e32 v4, 15, v4
	v_mov_b32_e32 v8, s5
	v_add_co_u32_e32 v6, vcc, s4, v6
	v_addc_co_u32_e32 v7, vcc, v8, v7, vcc
	v_lshlrev_b32_e32 v8, 1, v4
	v_add_co_u32_e32 v6, vcc, v6, v8
	v_addc_co_u32_e32 v7, vcc, 0, v7, vcc
	v_mov_b32_e32 v8, s23
	v_add_co_u32_e32 v6, vcc, s22, v6
	s_waitcnt lgkmcnt(0)
	s_mul_i32 s4, s1, s26
	s_mul_hi_u32 s5, s0, s26
	s_mul_i32 s1, s2, s1
	s_mul_hi_u32 s15, s2, s0
	v_addc_co_u32_e32 v7, vcc, v7, v8, vcc
	s_add_i32 s5, s5, s4
	s_mul_i32 s4, s0, s26
	s_add_i32 s1, s15, s1
	s_mul_i32 s15, s3, s0
	s_mov_b32 s9, s11
	v_add_co_u32_e32 v6, vcc, 32, v6
	s_lshl_b64 s[4:5], s[4:5], 1
	s_add_i32 s1, s1, s15
	s_mul_i32 s0, s2, s0
	v_add_u32_e32 v5, 12, v4
	v_addc_co_u32_e32 v7, vcc, 0, v7, vcc
	s_lshl_b64 s[22:23], s[0:1], 1
	s_sub_i32 s27, 0, s14
	v_cmp_lt_i64_e64 s[0:1], s[8:9], v[0:1]
	s_mov_b32 s28, 0x1000706
	v_mov_b32_e32 v12, s5
	v_pk_mov_b32 v[8:9], s[2:3], s[2:3] op_sel:[0,1]
	s_branch .LBB42_4
.LBB42_3:                               ;   in Loop: Header=BB42_4 Depth=1
	s_add_u32 s10, s10, s26
	v_add_co_u32_e32 v6, vcc, s4, v6
	s_addc_u32 s11, s11, 0
	v_addc_co_u32_e32 v7, vcc, v7, v12, vcc
	v_cmp_ge_i64_e32 vcc, s[10:11], v[8:9]
	s_cbranch_vccnz .LBB42_7
.LBB42_4:                               ; =>This Loop Header: Depth=1
                                        ;     Child Loop BB42_6 Depth 2
	s_andn2_b64 vcc, exec, s[0:1]
	s_cbranch_vccnz .LBB42_3
; %bb.5:                                ;   in Loop: Header=BB42_4 Depth=1
	s_load_dword s5, s[24:25], 0x8
	s_mul_i32 s2, s10, s17
	s_mul_hi_u32 s3, s10, s16
	s_add_i32 s2, s3, s2
	s_mul_i32 s3, s11, s16
	s_add_i32 s29, s2, s3
	s_waitcnt lgkmcnt(0)
	s_mul_i32 s2, s23, s5
	s_mul_hi_u32 s3, s22, s5
	s_add_i32 s2, s3, s2
	s_mul_i32 s30, s10, s16
	s_mul_i32 s31, s22, s5
	v_mov_b32_e32 v13, s2
	v_pk_mov_b32 v[10:11], v[6:7], v[6:7] op_sel:[0,1]
	s_mov_b64 s[14:15], s[8:9]
.LBB42_6:                               ;   Parent Loop BB42_4 Depth=1
                                        ; =>  This Inner Loop Header: Depth=2
	s_mul_hi_u32 s2, s12, s14
	s_add_i32 s2, s14, s2
	s_lshr_b32 s2, s2, s13
	s_mul_i32 s35, s27, s2
	s_mul_i32 s36, s2, s7
	s_mul_hi_u32 s37, s2, s6
	s_mul_i32 s2, s2, s6
	s_add_i32 s35, s14, s35
	s_add_i32 s36, s37, s36
	s_mul_hi_u32 s37, s2, 22
	s_mul_i32 s38, s35, s19
	s_mul_hi_u32 s39, s35, s18
	s_mul_i32 s36, s36, 22
	s_mul_i32 s2, s2, 22
	;; [unrolled: 1-line block ×3, first 2 shown]
	s_add_i32 s38, s39, s38
	s_add_i32 s37, s37, s36
	s_mul_hi_u32 s36, s35, 22
	s_add_u32 s2, s20, s2
	s_mul_i32 s38, s38, 22
	s_mul_i32 s35, s35, 22
	s_addc_u32 s37, s21, s37
	s_add_i32 s36, s36, s38
	s_mul_i32 s3, s29, 22
	s_mul_hi_u32 s33, s30, 22
	s_add_u32 s2, s2, s35
	s_mul_i32 s34, s30, 22
	s_addc_u32 s35, s37, s36
	s_add_i32 s33, s33, s3
	s_add_u32 s2, s2, s34
	s_addc_u32 s3, s35, s33
	v_mad_u64_u32 v[14:15], s[2:3], v2, 22, s[2:3]
	v_mov_b32_e32 v16, v15
	v_mad_u64_u32 v[16:17], s[2:3], v3, 22, v[16:17]
	v_mov_b32_e32 v15, v16
	v_add_co_u32_e32 v16, vcc, v14, v4
	global_load_dword v18, v[14:15], off
	global_load_ushort v19, v[14:15], off offset:4
	v_addc_co_u32_e32 v17, vcc, 0, v15, vcc
	global_load_ubyte v14, v[16:17], off offset:6
	s_add_u32 s14, s14, s5
	s_addc_u32 s15, s15, 0
	v_cmp_ge_i64_e32 vcc, s[14:15], v[0:1]
	s_and_b64 vcc, exec, vcc
	s_waitcnt vmcnt(1)
	v_perm_b32 v15, v18, v19, s28
	v_lshrrev_b32_e32 v16, v4, v15
	v_lshrrev_b32_e32 v15, v5, v15
	s_waitcnt vmcnt(0)
	v_lshrrev_b16_e32 v17, 4, v14
	v_lshlrev_b32_e32 v16, 4, v16
	v_and_b32_e32 v15, 16, v15
	v_or_b32_e32 v17, -16, v17
	v_or_b32_e32 v14, -16, v14
	v_and_b32_e32 v16, 16, v16
	v_add_u32_sdwa v15, v15, sext(v17) dst_sel:DWORD dst_unused:UNUSED_PAD src0_sel:DWORD src1_sel:WORD_0
	v_add_u32_e32 v14, v14, v16
	v_cvt_f32_i32_e32 v15, v15
	v_cvt_f32_i32_e32 v14, v14
	v_fma_mixlo_f16 v15, v18, v15, 0 op_sel_hi:[1,0,0]
	v_fma_mixlo_f16 v14, v18, v14, 0 op_sel_hi:[1,0,0]
	global_store_short v[10:11], v15, off
	global_store_short v[10:11], v14, off offset:-32
	v_add_co_u32_e64 v10, s[2:3], s31, v10
	v_addc_co_u32_e64 v11, s[2:3], v11, v13, s[2:3]
	s_cbranch_vccz .LBB42_6
	s_branch .LBB42_3
.LBB42_7:
	s_endpgm
	.section	.rodata,"a",@progbits
	.p2align	6, 0x0
	.amdhsa_kernel _ZL16dequantize_blockILi32ELi2EXadL_ZL15dequantize_q5_0PKvliR15HIP_vector_typeIfLj2EEEE6__halfEvS1_PT2_lllS2_IjLj3EElll
		.amdhsa_group_segment_fixed_size 0
		.amdhsa_private_segment_fixed_size 0
		.amdhsa_kernarg_size 336
		.amdhsa_user_sgpr_count 6
		.amdhsa_user_sgpr_private_segment_buffer 1
		.amdhsa_user_sgpr_dispatch_ptr 0
		.amdhsa_user_sgpr_queue_ptr 0
		.amdhsa_user_sgpr_kernarg_segment_ptr 1
		.amdhsa_user_sgpr_dispatch_id 0
		.amdhsa_user_sgpr_flat_scratch_init 0
		.amdhsa_user_sgpr_kernarg_preload_length 0
		.amdhsa_user_sgpr_kernarg_preload_offset 0
		.amdhsa_user_sgpr_private_segment_size 0
		.amdhsa_uses_dynamic_stack 0
		.amdhsa_system_sgpr_private_segment_wavefront_offset 0
		.amdhsa_system_sgpr_workgroup_id_x 1
		.amdhsa_system_sgpr_workgroup_id_y 1
		.amdhsa_system_sgpr_workgroup_id_z 1
		.amdhsa_system_sgpr_workgroup_info 0
		.amdhsa_system_vgpr_workitem_id 0
		.amdhsa_next_free_vgpr 20
		.amdhsa_next_free_sgpr 40
		.amdhsa_accum_offset 20
		.amdhsa_reserve_vcc 1
		.amdhsa_reserve_flat_scratch 0
		.amdhsa_float_round_mode_32 0
		.amdhsa_float_round_mode_16_64 0
		.amdhsa_float_denorm_mode_32 3
		.amdhsa_float_denorm_mode_16_64 3
		.amdhsa_dx10_clamp 1
		.amdhsa_ieee_mode 1
		.amdhsa_fp16_overflow 0
		.amdhsa_tg_split 0
		.amdhsa_exception_fp_ieee_invalid_op 0
		.amdhsa_exception_fp_denorm_src 0
		.amdhsa_exception_fp_ieee_div_zero 0
		.amdhsa_exception_fp_ieee_overflow 0
		.amdhsa_exception_fp_ieee_underflow 0
		.amdhsa_exception_fp_ieee_inexact 0
		.amdhsa_exception_int_div_zero 0
	.end_amdhsa_kernel
	.section	.text._ZL16dequantize_blockILi32ELi2EXadL_ZL15dequantize_q5_0PKvliR15HIP_vector_typeIfLj2EEEE6__halfEvS1_PT2_lllS2_IjLj3EElll,"axG",@progbits,_ZL16dequantize_blockILi32ELi2EXadL_ZL15dequantize_q5_0PKvliR15HIP_vector_typeIfLj2EEEE6__halfEvS1_PT2_lllS2_IjLj3EElll,comdat
.Lfunc_end42:
	.size	_ZL16dequantize_blockILi32ELi2EXadL_ZL15dequantize_q5_0PKvliR15HIP_vector_typeIfLj2EEEE6__halfEvS1_PT2_lllS2_IjLj3EElll, .Lfunc_end42-_ZL16dequantize_blockILi32ELi2EXadL_ZL15dequantize_q5_0PKvliR15HIP_vector_typeIfLj2EEEE6__halfEvS1_PT2_lllS2_IjLj3EElll
                                        ; -- End function
	.section	.AMDGPU.csdata,"",@progbits
; Kernel info:
; codeLenInByte = 788
; NumSgprs: 44
; NumVgprs: 20
; NumAgprs: 0
; TotalNumVgprs: 20
; ScratchSize: 0
; MemoryBound: 0
; FloatMode: 240
; IeeeMode: 1
; LDSByteSize: 0 bytes/workgroup (compile time only)
; SGPRBlocks: 5
; VGPRBlocks: 2
; NumSGPRsForWavesPerEU: 44
; NumVGPRsForWavesPerEU: 20
; AccumOffset: 20
; Occupancy: 8
; WaveLimiterHint : 0
; COMPUTE_PGM_RSRC2:SCRATCH_EN: 0
; COMPUTE_PGM_RSRC2:USER_SGPR: 6
; COMPUTE_PGM_RSRC2:TRAP_HANDLER: 0
; COMPUTE_PGM_RSRC2:TGID_X_EN: 1
; COMPUTE_PGM_RSRC2:TGID_Y_EN: 1
; COMPUTE_PGM_RSRC2:TGID_Z_EN: 1
; COMPUTE_PGM_RSRC2:TIDIG_COMP_CNT: 0
; COMPUTE_PGM_RSRC3_GFX90A:ACCUM_OFFSET: 4
; COMPUTE_PGM_RSRC3_GFX90A:TG_SPLIT: 0
	.section	.text._ZL16dequantize_blockILi32ELi2EXadL_ZL15dequantize_q5_1PKvliR15HIP_vector_typeIfLj2EEEE6__halfEvS1_PT2_lllS2_IjLj3EElll,"axG",@progbits,_ZL16dequantize_blockILi32ELi2EXadL_ZL15dequantize_q5_1PKvliR15HIP_vector_typeIfLj2EEEE6__halfEvS1_PT2_lllS2_IjLj3EElll,comdat
	.globl	_ZL16dequantize_blockILi32ELi2EXadL_ZL15dequantize_q5_1PKvliR15HIP_vector_typeIfLj2EEEE6__halfEvS1_PT2_lllS2_IjLj3EElll ; -- Begin function _ZL16dequantize_blockILi32ELi2EXadL_ZL15dequantize_q5_1PKvliR15HIP_vector_typeIfLj2EEEE6__halfEvS1_PT2_lllS2_IjLj3EElll
	.p2align	8
	.type	_ZL16dequantize_blockILi32ELi2EXadL_ZL15dequantize_q5_1PKvliR15HIP_vector_typeIfLj2EEEE6__halfEvS1_PT2_lllS2_IjLj3EElll,@function
_ZL16dequantize_blockILi32ELi2EXadL_ZL15dequantize_q5_1PKvliR15HIP_vector_typeIfLj2EEEE6__halfEvS1_PT2_lllS2_IjLj3EElll: ; @_ZL16dequantize_blockILi32ELi2EXadL_ZL15dequantize_q5_1PKvliR15HIP_vector_typeIfLj2EEEE6__halfEvS1_PT2_lllS2_IjLj3EElll
; %bb.0:
	s_mov_b32 s10, s7
	s_load_dword s7, s[4:5], 0x5c
	s_load_dwordx4 s[0:3], s[4:5], 0x10
	s_add_u32 s24, s4, 0x50
	s_addc_u32 s25, s5, 0
	v_mov_b32_e32 v1, 0
	s_waitcnt lgkmcnt(0)
	s_and_b32 s7, s7, 0xffff
	v_mov_b32_e32 v2, s6
	v_mad_u64_u32 v[4:5], s[6:7], s7, v2, v[0:1]
	v_lshlrev_b64 v[0:1], 1, v[4:5]
	v_cmp_gt_i64_e32 vcc, s[0:1], v[0:1]
	s_and_saveexec_b64 s[6:7], vcc
	s_cbranch_execz .LBB43_7
; %bb.1:
	s_load_dwordx2 s[26:27], s[4:5], 0x20
	s_mov_b32 s11, 0
	v_pk_mov_b32 v[0:1], s[2:3], s[2:3] op_sel:[0,1]
	v_cmp_ge_i64_e32 vcc, s[10:11], v[0:1]
	s_cbranch_vccnz .LBB43_7
; %bb.2:
	s_load_dwordx4 s[20:23], s[4:5], 0x0
	s_load_dwordx8 s[12:19], s[4:5], 0x28
	s_load_dwordx2 s[6:7], s[4:5], 0x48
	s_mul_i32 s4, s3, s8
	s_mul_hi_u32 s5, s2, s8
	s_add_i32 s5, s5, s4
	s_mul_i32 s4, s2, s8
	s_add_u32 s4, s4, s10
	s_addc_u32 s5, s5, 0
	s_mul_i32 s5, s0, s5
	s_waitcnt lgkmcnt(0)
	s_mul_hi_u32 s15, s0, s4
	s_add_i32 s5, s15, s5
	s_mul_i32 s15, s1, s4
	v_lshrrev_b64 v[2:3], 4, v[4:5]
	s_add_i32 s5, s5, s15
	s_mul_i32 s4, s0, s4
	v_pk_mov_b32 v[0:1], s[26:27], s[26:27] op_sel:[0,1]
	s_load_dword s26, s[24:25], 0x4
	s_lshl_b64 s[4:5], s[4:5], 1
	v_lshlrev_b64 v[6:7], 6, v[2:3]
	v_and_b32_e32 v4, 15, v4
	v_mov_b32_e32 v8, s5
	v_add_co_u32_e32 v6, vcc, s4, v6
	v_addc_co_u32_e32 v7, vcc, v8, v7, vcc
	v_lshlrev_b32_e32 v8, 1, v4
	v_add_co_u32_e32 v6, vcc, v6, v8
	v_addc_co_u32_e32 v7, vcc, 0, v7, vcc
	v_mov_b32_e32 v8, s23
	v_add_co_u32_e32 v6, vcc, s22, v6
	s_waitcnt lgkmcnt(0)
	s_mul_i32 s4, s1, s26
	s_mul_hi_u32 s5, s0, s26
	s_mul_i32 s1, s2, s1
	s_mul_hi_u32 s15, s2, s0
	v_addc_co_u32_e32 v7, vcc, v7, v8, vcc
	s_add_i32 s5, s5, s4
	s_mul_i32 s4, s0, s26
	s_add_i32 s1, s15, s1
	s_mul_i32 s15, s3, s0
	s_mov_b32 s9, s11
	v_add_co_u32_e32 v6, vcc, 32, v6
	s_lshl_b64 s[4:5], s[4:5], 1
	s_add_i32 s1, s1, s15
	s_mul_i32 s0, s2, s0
	v_add_u32_e32 v5, 12, v4
	v_addc_co_u32_e32 v7, vcc, 0, v7, vcc
	s_lshl_b64 s[22:23], s[0:1], 1
	s_sub_i32 s27, 0, s14
	v_cmp_lt_i64_e64 s[0:1], s[8:9], v[0:1]
	v_mov_b32_e32 v12, s5
	v_pk_mov_b32 v[8:9], s[2:3], s[2:3] op_sel:[0,1]
	s_branch .LBB43_4
.LBB43_3:                               ;   in Loop: Header=BB43_4 Depth=1
	s_add_u32 s10, s10, s26
	v_add_co_u32_e32 v6, vcc, s4, v6
	s_addc_u32 s11, s11, 0
	v_addc_co_u32_e32 v7, vcc, v7, v12, vcc
	v_cmp_ge_i64_e32 vcc, s[10:11], v[8:9]
	s_cbranch_vccnz .LBB43_7
.LBB43_4:                               ; =>This Loop Header: Depth=1
                                        ;     Child Loop BB43_6 Depth 2
	s_andn2_b64 vcc, exec, s[0:1]
	s_cbranch_vccnz .LBB43_3
; %bb.5:                                ;   in Loop: Header=BB43_4 Depth=1
	s_load_dword s5, s[24:25], 0x8
	s_mul_i32 s2, s10, s17
	s_mul_hi_u32 s3, s10, s16
	s_add_i32 s2, s3, s2
	s_mul_i32 s3, s11, s16
	s_add_i32 s28, s2, s3
	s_waitcnt lgkmcnt(0)
	s_mul_i32 s2, s23, s5
	s_mul_hi_u32 s3, s22, s5
	s_add_i32 s2, s3, s2
	s_mul_i32 s29, s10, s16
	s_mul_i32 s30, s22, s5
	v_mov_b32_e32 v13, s2
	v_pk_mov_b32 v[10:11], v[6:7], v[6:7] op_sel:[0,1]
	s_mov_b64 s[14:15], s[8:9]
.LBB43_6:                               ;   Parent Loop BB43_4 Depth=1
                                        ; =>  This Inner Loop Header: Depth=2
	s_mul_hi_u32 s2, s12, s14
	s_add_i32 s2, s14, s2
	s_lshr_b32 s2, s2, s13
	s_mul_i32 s34, s27, s2
	s_mul_i32 s35, s2, s7
	s_mul_hi_u32 s36, s2, s6
	s_mul_i32 s2, s2, s6
	s_add_i32 s34, s14, s34
	s_add_i32 s35, s36, s35
	s_mul_hi_u32 s36, s2, 24
	s_mul_i32 s37, s34, s19
	s_mul_hi_u32 s38, s34, s18
	s_mul_i32 s35, s35, 24
	s_mul_i32 s2, s2, 24
	;; [unrolled: 1-line block ×3, first 2 shown]
	s_add_i32 s37, s38, s37
	s_add_i32 s36, s36, s35
	s_mul_hi_u32 s35, s34, 24
	s_add_u32 s2, s20, s2
	s_mul_i32 s37, s37, 24
	s_mul_i32 s34, s34, 24
	s_addc_u32 s36, s21, s36
	s_add_i32 s35, s35, s37
	s_mul_i32 s3, s28, 24
	s_mul_hi_u32 s31, s29, 24
	s_add_u32 s2, s2, s34
	s_mul_i32 s33, s29, 24
	s_addc_u32 s34, s36, s35
	s_add_i32 s31, s31, s3
	s_add_u32 s2, s2, s33
	s_addc_u32 s3, s34, s31
	v_mad_u64_u32 v[14:15], s[2:3], v2, 24, s[2:3]
	v_mov_b32_e32 v16, v15
	v_mad_u64_u32 v[16:17], s[2:3], v3, 24, v[16:17]
	v_mov_b32_e32 v15, v16
	global_load_ushort v18, v[14:15], off offset:4
	global_load_ushort v19, v[14:15], off offset:6
	v_add_co_u32_e32 v16, vcc, v14, v4
	v_addc_co_u32_e32 v17, vcc, 0, v15, vcc
	global_load_dword v20, v[14:15], off
	global_load_ubyte v21, v[16:17], off offset:8
	s_add_u32 s14, s14, s5
	s_addc_u32 s15, s15, 0
	v_cmp_ge_i64_e32 vcc, s[14:15], v[0:1]
	s_and_b64 vcc, exec, vcc
	s_waitcnt vmcnt(2)
	v_lshrrev_b16_e32 v14, 8, v19
	v_and_b32_e32 v15, 0xff, v19
	v_lshlrev_b32_e32 v14, 24, v14
	v_lshlrev_b32_e32 v15, 16, v15
	v_or3_b32 v14, v15, v18, v14
	s_waitcnt vmcnt(0)
	v_lshrrev_b16_e32 v17, 4, v21
	v_lshrrev_b32_e32 v15, v4, v14
	v_lshrrev_b32_e32 v14, v5, v14
	v_and_b32_e32 v16, 15, v21
	v_lshlrev_b32_e32 v15, 4, v15
	v_and_or_b32 v14, v14, 16, v17
	v_and_or_b32 v15, v15, 16, v16
	v_cvt_f32_ubyte0_e32 v14, v14
	v_cvt_f32_ubyte0_e32 v15, v15
	v_fma_mixlo_f16 v14, v20, v14, v20 op_sel:[0,0,1] op_sel_hi:[1,0,1]
	v_fma_mixlo_f16 v15, v20, v15, v20 op_sel:[0,0,1] op_sel_hi:[1,0,1]
	global_store_short v[10:11], v14, off
	global_store_short v[10:11], v15, off offset:-32
	v_add_co_u32_e64 v10, s[2:3], s30, v10
	v_addc_co_u32_e64 v11, s[2:3], v11, v13, s[2:3]
	s_cbranch_vccz .LBB43_6
	s_branch .LBB43_3
.LBB43_7:
	s_endpgm
	.section	.rodata,"a",@progbits
	.p2align	6, 0x0
	.amdhsa_kernel _ZL16dequantize_blockILi32ELi2EXadL_ZL15dequantize_q5_1PKvliR15HIP_vector_typeIfLj2EEEE6__halfEvS1_PT2_lllS2_IjLj3EElll
		.amdhsa_group_segment_fixed_size 0
		.amdhsa_private_segment_fixed_size 0
		.amdhsa_kernarg_size 336
		.amdhsa_user_sgpr_count 6
		.amdhsa_user_sgpr_private_segment_buffer 1
		.amdhsa_user_sgpr_dispatch_ptr 0
		.amdhsa_user_sgpr_queue_ptr 0
		.amdhsa_user_sgpr_kernarg_segment_ptr 1
		.amdhsa_user_sgpr_dispatch_id 0
		.amdhsa_user_sgpr_flat_scratch_init 0
		.amdhsa_user_sgpr_kernarg_preload_length 0
		.amdhsa_user_sgpr_kernarg_preload_offset 0
		.amdhsa_user_sgpr_private_segment_size 0
		.amdhsa_uses_dynamic_stack 0
		.amdhsa_system_sgpr_private_segment_wavefront_offset 0
		.amdhsa_system_sgpr_workgroup_id_x 1
		.amdhsa_system_sgpr_workgroup_id_y 1
		.amdhsa_system_sgpr_workgroup_id_z 1
		.amdhsa_system_sgpr_workgroup_info 0
		.amdhsa_system_vgpr_workitem_id 0
		.amdhsa_next_free_vgpr 22
		.amdhsa_next_free_sgpr 39
		.amdhsa_accum_offset 24
		.amdhsa_reserve_vcc 1
		.amdhsa_reserve_flat_scratch 0
		.amdhsa_float_round_mode_32 0
		.amdhsa_float_round_mode_16_64 0
		.amdhsa_float_denorm_mode_32 3
		.amdhsa_float_denorm_mode_16_64 3
		.amdhsa_dx10_clamp 1
		.amdhsa_ieee_mode 1
		.amdhsa_fp16_overflow 0
		.amdhsa_tg_split 0
		.amdhsa_exception_fp_ieee_invalid_op 0
		.amdhsa_exception_fp_denorm_src 0
		.amdhsa_exception_fp_ieee_div_zero 0
		.amdhsa_exception_fp_ieee_overflow 0
		.amdhsa_exception_fp_ieee_underflow 0
		.amdhsa_exception_fp_ieee_inexact 0
		.amdhsa_exception_int_div_zero 0
	.end_amdhsa_kernel
	.section	.text._ZL16dequantize_blockILi32ELi2EXadL_ZL15dequantize_q5_1PKvliR15HIP_vector_typeIfLj2EEEE6__halfEvS1_PT2_lllS2_IjLj3EElll,"axG",@progbits,_ZL16dequantize_blockILi32ELi2EXadL_ZL15dequantize_q5_1PKvliR15HIP_vector_typeIfLj2EEEE6__halfEvS1_PT2_lllS2_IjLj3EElll,comdat
.Lfunc_end43:
	.size	_ZL16dequantize_blockILi32ELi2EXadL_ZL15dequantize_q5_1PKvliR15HIP_vector_typeIfLj2EEEE6__halfEvS1_PT2_lllS2_IjLj3EElll, .Lfunc_end43-_ZL16dequantize_blockILi32ELi2EXadL_ZL15dequantize_q5_1PKvliR15HIP_vector_typeIfLj2EEEE6__halfEvS1_PT2_lllS2_IjLj3EElll
                                        ; -- End function
	.section	.AMDGPU.csdata,"",@progbits
; Kernel info:
; codeLenInByte = 800
; NumSgprs: 43
; NumVgprs: 22
; NumAgprs: 0
; TotalNumVgprs: 22
; ScratchSize: 0
; MemoryBound: 0
; FloatMode: 240
; IeeeMode: 1
; LDSByteSize: 0 bytes/workgroup (compile time only)
; SGPRBlocks: 5
; VGPRBlocks: 2
; NumSGPRsForWavesPerEU: 43
; NumVGPRsForWavesPerEU: 22
; AccumOffset: 24
; Occupancy: 8
; WaveLimiterHint : 0
; COMPUTE_PGM_RSRC2:SCRATCH_EN: 0
; COMPUTE_PGM_RSRC2:USER_SGPR: 6
; COMPUTE_PGM_RSRC2:TRAP_HANDLER: 0
; COMPUTE_PGM_RSRC2:TGID_X_EN: 1
; COMPUTE_PGM_RSRC2:TGID_Y_EN: 1
; COMPUTE_PGM_RSRC2:TGID_Z_EN: 1
; COMPUTE_PGM_RSRC2:TIDIG_COMP_CNT: 0
; COMPUTE_PGM_RSRC3_GFX90A:ACCUM_OFFSET: 5
; COMPUTE_PGM_RSRC3_GFX90A:TG_SPLIT: 0
	.section	.text._ZL16dequantize_blockILi32ELi1EXadL_ZL15dequantize_q8_0PKvliR15HIP_vector_typeIfLj2EEEE6__halfEvS1_PT2_lllS2_IjLj3EElll,"axG",@progbits,_ZL16dequantize_blockILi32ELi1EXadL_ZL15dequantize_q8_0PKvliR15HIP_vector_typeIfLj2EEEE6__halfEvS1_PT2_lllS2_IjLj3EElll,comdat
	.globl	_ZL16dequantize_blockILi32ELi1EXadL_ZL15dequantize_q8_0PKvliR15HIP_vector_typeIfLj2EEEE6__halfEvS1_PT2_lllS2_IjLj3EElll ; -- Begin function _ZL16dequantize_blockILi32ELi1EXadL_ZL15dequantize_q8_0PKvliR15HIP_vector_typeIfLj2EEEE6__halfEvS1_PT2_lllS2_IjLj3EElll
	.p2align	8
	.type	_ZL16dequantize_blockILi32ELi1EXadL_ZL15dequantize_q8_0PKvliR15HIP_vector_typeIfLj2EEEE6__halfEvS1_PT2_lllS2_IjLj3EElll,@function
_ZL16dequantize_blockILi32ELi1EXadL_ZL15dequantize_q8_0PKvliR15HIP_vector_typeIfLj2EEEE6__halfEvS1_PT2_lllS2_IjLj3EElll: ; @_ZL16dequantize_blockILi32ELi1EXadL_ZL15dequantize_q8_0PKvliR15HIP_vector_typeIfLj2EEEE6__halfEvS1_PT2_lllS2_IjLj3EElll
; %bb.0:
	s_mov_b32 s10, s7
	s_load_dword s7, s[4:5], 0x5c
	s_load_dwordx4 s[0:3], s[4:5], 0x10
	s_add_u32 s24, s4, 0x50
	s_addc_u32 s25, s5, 0
	v_mov_b32_e32 v1, 0
	s_waitcnt lgkmcnt(0)
	s_and_b32 s9, s7, 0xffff
	v_mov_b32_e32 v2, s6
	v_mad_u64_u32 v[4:5], s[12:13], s9, v2, v[0:1]
	v_lshlrev_b64 v[6:7], 1, v[4:5]
	v_cmp_gt_i64_e32 vcc, s[0:1], v[6:7]
	s_and_saveexec_b64 s[12:13], vcc
	s_cbranch_execz .LBB44_7
; %bb.1:
	s_load_dwordx2 s[28:29], s[4:5], 0x20
	s_mov_b32 s11, 0
	v_pk_mov_b32 v[2:3], s[2:3], s[2:3] op_sel:[0,1]
	v_cmp_ge_i64_e32 vcc, s[10:11], v[2:3]
	s_cbranch_vccnz .LBB44_7
; %bb.2:
	s_load_dwordx4 s[20:23], s[4:5], 0x0
	s_load_dwordx8 s[12:19], s[4:5], 0x28
	s_load_dwordx2 s[26:27], s[4:5], 0x48
	s_mul_i32 s4, s3, s8
	s_mul_hi_u32 s5, s2, s8
	s_add_i32 s5, s5, s4
	s_mul_i32 s4, s2, s8
	s_add_u32 s4, s4, s10
	s_addc_u32 s5, s5, 0
	s_mul_i32 s5, s0, s5
	s_waitcnt lgkmcnt(0)
	s_mul_hi_u32 s15, s0, s4
	s_add_i32 s5, s15, s5
	s_mul_i32 s15, s1, s4
	v_lshrrev_b64 v[4:5], 4, v[4:5]
	s_add_i32 s5, s5, s15
	s_mul_i32 s4, s0, s4
	s_lshl_b64 s[4:5], s[4:5], 1
	v_lshlrev_b64 v[8:9], 6, v[4:5]
	v_add_co_u32_e32 v7, vcc, s4, v8
	v_mov_b32_e32 v8, s7
	v_mad_legacy_u16 v0, s6, v8, v0
	v_pk_mov_b32 v[2:3], s[28:29], s[28:29] op_sel:[0,1]
	s_load_dword s28, s[24:25], 0x4
	v_mov_b32_e32 v1, s5
	v_and_b32_e32 v0, 15, v0
	v_addc_co_u32_e32 v1, vcc, v1, v9, vcc
	v_lshlrev_b32_e32 v0, 2, v0
	v_add_co_u32_e32 v0, vcc, v7, v0
	v_addc_co_u32_e32 v1, vcc, 0, v1, vcc
	v_mov_b32_e32 v7, s23
	v_add_co_u32_e32 v0, vcc, s22, v0
	s_mov_b32 s9, s11
	v_addc_co_u32_e32 v1, vcc, v7, v1, vcc
	s_waitcnt lgkmcnt(0)
	s_mul_i32 s4, s1, s28
	s_mul_hi_u32 s5, s0, s28
	s_mul_i32 s1, s2, s1
	s_mul_hi_u32 s6, s2, s0
	s_add_i32 s5, s5, s4
	s_mul_i32 s4, s0, s28
	s_add_i32 s1, s6, s1
	s_mul_i32 s6, s3, s0
	v_cmp_lt_i64_e32 vcc, s[8:9], v[2:3]
	s_lshl_b64 s[4:5], s[4:5], 1
	s_add_i32 s1, s1, s6
	s_mul_i32 s0, s2, s0
	v_cndmask_b32_e64 v10, 0, 1, vcc
	v_and_b32_e32 v6, 30, v6
	s_lshl_b64 s[6:7], s[0:1], 1
	s_sub_i32 s22, 0, s14
	v_mov_b32_e32 v7, s5
	v_pk_mov_b32 v[8:9], s[2:3], s[2:3] op_sel:[0,1]
	v_cmp_ne_u32_e64 s[0:1], 1, v10
	s_branch .LBB44_4
.LBB44_3:                               ;   in Loop: Header=BB44_4 Depth=1
	s_add_u32 s10, s10, s28
	v_add_co_u32_e32 v0, vcc, s4, v0
	s_addc_u32 s11, s11, 0
	v_addc_co_u32_e32 v1, vcc, v1, v7, vcc
	v_cmp_ge_i64_e32 vcc, s[10:11], v[8:9]
	s_cbranch_vccnz .LBB44_7
.LBB44_4:                               ; =>This Loop Header: Depth=1
                                        ;     Child Loop BB44_6 Depth 2
	s_and_b64 vcc, exec, s[0:1]
	s_cbranch_vccnz .LBB44_3
; %bb.5:                                ;   in Loop: Header=BB44_4 Depth=1
	s_load_dword s5, s[24:25], 0x8
	s_mul_i32 s2, s10, s17
	s_mul_hi_u32 s3, s10, s16
	s_add_i32 s2, s3, s2
	s_mul_i32 s3, s11, s16
	s_add_i32 s23, s2, s3
	s_waitcnt lgkmcnt(0)
	s_mul_i32 s2, s7, s5
	s_mul_hi_u32 s3, s6, s5
	s_add_i32 s2, s3, s2
	s_mul_i32 s29, s10, s16
	s_mul_i32 s30, s6, s5
	v_mov_b32_e32 v12, s2
	v_pk_mov_b32 v[10:11], v[0:1], v[0:1] op_sel:[0,1]
	s_mov_b64 s[14:15], s[8:9]
.LBB44_6:                               ;   Parent Loop BB44_4 Depth=1
                                        ; =>  This Inner Loop Header: Depth=2
	s_mul_hi_u32 s2, s12, s14
	s_add_i32 s2, s14, s2
	s_lshr_b32 s2, s2, s13
	s_mul_i32 s34, s22, s2
	s_mul_i32 s35, s2, s27
	s_mul_hi_u32 s36, s2, s26
	s_mul_i32 s2, s2, s26
	s_add_i32 s34, s14, s34
	s_add_i32 s35, s36, s35
	s_mul_hi_u32 s36, s2, 34
	s_mul_i32 s37, s34, s19
	s_mul_hi_u32 s38, s34, s18
	s_mul_i32 s35, s35, 34
	s_mul_i32 s2, s2, 34
	;; [unrolled: 1-line block ×3, first 2 shown]
	s_add_i32 s37, s38, s37
	s_add_i32 s36, s36, s35
	s_mul_hi_u32 s35, s34, 34
	s_add_u32 s2, s20, s2
	s_mul_i32 s37, s37, 34
	s_mul_i32 s34, s34, 34
	s_addc_u32 s36, s21, s36
	s_add_i32 s35, s35, s37
	s_mul_i32 s3, s23, 34
	s_mul_hi_u32 s31, s29, 34
	s_add_u32 s2, s2, s34
	s_mul_i32 s33, s29, 34
	s_addc_u32 s34, s36, s35
	s_add_i32 s31, s31, s3
	s_add_u32 s2, s2, s33
	s_addc_u32 s3, s34, s31
	v_mad_u64_u32 v[14:15], s[2:3], v4, 34, s[2:3]
	v_mov_b32_e32 v16, v15
	v_mad_u64_u32 v[16:17], s[2:3], v5, 34, v[16:17]
	v_mov_b32_e32 v15, v16
	v_add_co_u32_e32 v16, vcc, v14, v6
	v_addc_co_u32_e32 v17, vcc, 0, v15, vcc
	global_load_ushort v13, v[14:15], off
	global_load_ushort v18, v[16:17], off offset:2
	s_add_u32 s14, s14, s5
	s_addc_u32 s15, s15, 0
	v_cmp_ge_i64_e32 vcc, s[14:15], v[2:3]
	s_and_b64 vcc, exec, vcc
	s_waitcnt vmcnt(1)
	v_cvt_f32_f16_e32 v14, v13
	s_waitcnt vmcnt(0)
	v_bfe_i32 v13, v18, 0, 8
	v_ashrrev_i16_e32 v15, 8, v18
	v_cvt_f32_i32_sdwa v17, sext(v15) dst_sel:DWORD dst_unused:UNUSED_PAD src0_sel:WORD_0
	v_cvt_f32_i32_sdwa v16, sext(v13) dst_sel:DWORD dst_unused:UNUSED_PAD src0_sel:WORD_0
	v_pk_mul_f32 v[14:15], v[14:15], v[16:17] op_sel_hi:[0,1]
	v_cvt_f16_f32_e32 v13, v15
	v_cvt_f16_f32_e32 v14, v14
	v_pack_b32_f16 v13, v14, v13
	global_store_dword v[10:11], v13, off
	v_add_co_u32_e64 v10, s[2:3], s30, v10
	v_addc_co_u32_e64 v11, s[2:3], v11, v12, s[2:3]
	s_cbranch_vccz .LBB44_6
	s_branch .LBB44_3
.LBB44_7:
	s_endpgm
	.section	.rodata,"a",@progbits
	.p2align	6, 0x0
	.amdhsa_kernel _ZL16dequantize_blockILi32ELi1EXadL_ZL15dequantize_q8_0PKvliR15HIP_vector_typeIfLj2EEEE6__halfEvS1_PT2_lllS2_IjLj3EElll
		.amdhsa_group_segment_fixed_size 0
		.amdhsa_private_segment_fixed_size 0
		.amdhsa_kernarg_size 336
		.amdhsa_user_sgpr_count 6
		.amdhsa_user_sgpr_private_segment_buffer 1
		.amdhsa_user_sgpr_dispatch_ptr 0
		.amdhsa_user_sgpr_queue_ptr 0
		.amdhsa_user_sgpr_kernarg_segment_ptr 1
		.amdhsa_user_sgpr_dispatch_id 0
		.amdhsa_user_sgpr_flat_scratch_init 0
		.amdhsa_user_sgpr_kernarg_preload_length 0
		.amdhsa_user_sgpr_kernarg_preload_offset 0
		.amdhsa_user_sgpr_private_segment_size 0
		.amdhsa_uses_dynamic_stack 0
		.amdhsa_system_sgpr_private_segment_wavefront_offset 0
		.amdhsa_system_sgpr_workgroup_id_x 1
		.amdhsa_system_sgpr_workgroup_id_y 1
		.amdhsa_system_sgpr_workgroup_id_z 1
		.amdhsa_system_sgpr_workgroup_info 0
		.amdhsa_system_vgpr_workitem_id 0
		.amdhsa_next_free_vgpr 19
		.amdhsa_next_free_sgpr 39
		.amdhsa_accum_offset 20
		.amdhsa_reserve_vcc 1
		.amdhsa_reserve_flat_scratch 0
		.amdhsa_float_round_mode_32 0
		.amdhsa_float_round_mode_16_64 0
		.amdhsa_float_denorm_mode_32 3
		.amdhsa_float_denorm_mode_16_64 3
		.amdhsa_dx10_clamp 1
		.amdhsa_ieee_mode 1
		.amdhsa_fp16_overflow 0
		.amdhsa_tg_split 0
		.amdhsa_exception_fp_ieee_invalid_op 0
		.amdhsa_exception_fp_denorm_src 0
		.amdhsa_exception_fp_ieee_div_zero 0
		.amdhsa_exception_fp_ieee_overflow 0
		.amdhsa_exception_fp_ieee_underflow 0
		.amdhsa_exception_fp_ieee_inexact 0
		.amdhsa_exception_int_div_zero 0
	.end_amdhsa_kernel
	.section	.text._ZL16dequantize_blockILi32ELi1EXadL_ZL15dequantize_q8_0PKvliR15HIP_vector_typeIfLj2EEEE6__halfEvS1_PT2_lllS2_IjLj3EElll,"axG",@progbits,_ZL16dequantize_blockILi32ELi1EXadL_ZL15dequantize_q8_0PKvliR15HIP_vector_typeIfLj2EEEE6__halfEvS1_PT2_lllS2_IjLj3EElll,comdat
.Lfunc_end44:
	.size	_ZL16dequantize_blockILi32ELi1EXadL_ZL15dequantize_q8_0PKvliR15HIP_vector_typeIfLj2EEEE6__halfEvS1_PT2_lllS2_IjLj3EElll, .Lfunc_end44-_ZL16dequantize_blockILi32ELi1EXadL_ZL15dequantize_q8_0PKvliR15HIP_vector_typeIfLj2EEEE6__halfEvS1_PT2_lllS2_IjLj3EElll
                                        ; -- End function
	.section	.AMDGPU.csdata,"",@progbits
; Kernel info:
; codeLenInByte = 760
; NumSgprs: 43
; NumVgprs: 19
; NumAgprs: 0
; TotalNumVgprs: 19
; ScratchSize: 0
; MemoryBound: 0
; FloatMode: 240
; IeeeMode: 1
; LDSByteSize: 0 bytes/workgroup (compile time only)
; SGPRBlocks: 5
; VGPRBlocks: 2
; NumSGPRsForWavesPerEU: 43
; NumVGPRsForWavesPerEU: 19
; AccumOffset: 20
; Occupancy: 8
; WaveLimiterHint : 0
; COMPUTE_PGM_RSRC2:SCRATCH_EN: 0
; COMPUTE_PGM_RSRC2:USER_SGPR: 6
; COMPUTE_PGM_RSRC2:TRAP_HANDLER: 0
; COMPUTE_PGM_RSRC2:TGID_X_EN: 1
; COMPUTE_PGM_RSRC2:TGID_Y_EN: 1
; COMPUTE_PGM_RSRC2:TGID_Z_EN: 1
; COMPUTE_PGM_RSRC2:TIDIG_COMP_CNT: 0
; COMPUTE_PGM_RSRC3_GFX90A:ACCUM_OFFSET: 4
; COMPUTE_PGM_RSRC3_GFX90A:TG_SPLIT: 0
	.section	.text._ZL13convert_unaryI14__hip_bfloat166__halfEvPKvPT0_lll15HIP_vector_typeIjLj3EElll,"axG",@progbits,_ZL13convert_unaryI14__hip_bfloat166__halfEvPKvPT0_lll15HIP_vector_typeIjLj3EElll,comdat
	.globl	_ZL13convert_unaryI14__hip_bfloat166__halfEvPKvPT0_lll15HIP_vector_typeIjLj3EElll ; -- Begin function _ZL13convert_unaryI14__hip_bfloat166__halfEvPKvPT0_lll15HIP_vector_typeIjLj3EElll
	.p2align	8
	.type	_ZL13convert_unaryI14__hip_bfloat166__halfEvPKvPT0_lll15HIP_vector_typeIjLj3EElll,@function
_ZL13convert_unaryI14__hip_bfloat166__halfEvPKvPT0_lll15HIP_vector_typeIjLj3EElll: ; @_ZL13convert_unaryI14__hip_bfloat166__halfEvPKvPT0_lll15HIP_vector_typeIjLj3EElll
; %bb.0:
	s_load_dword s0, s[4:5], 0x5c
	s_load_dwordx4 s[36:39], s[4:5], 0x10
	s_add_u32 s30, s4, 0x50
	s_addc_u32 s31, s5, 0
	v_mov_b32_e32 v1, 0
	s_waitcnt lgkmcnt(0)
	s_and_b32 s0, s0, 0xffff
	v_mov_b32_e32 v2, s6
	v_mad_u64_u32 v[0:1], s[0:1], s0, v2, v[0:1]
	v_cmp_gt_i64_e32 vcc, s[36:37], v[0:1]
	s_and_saveexec_b64 s[0:1], vcc
	s_cbranch_execz .LBB45_16
; %bb.1:
	s_load_dwordx2 s[40:41], s[4:5], 0x20
	s_mov_b32 s10, s7
	s_mov_b32 s11, 0
	v_pk_mov_b32 v[2:3], s[38:39], s[38:39] op_sel:[0,1]
	v_cmp_ge_i64_e32 vcc, s[10:11], v[2:3]
	s_cbranch_vccnz .LBB45_16
; %bb.2:
	s_mov_b32 s0, s8
                                        ; implicit-def: $vgpr22 : SGPR spill to VGPR lane
	s_mov_b32 s28, s8
	v_writelane_b32 v22, s0, 0
	s_mov_b32 s0, s11
	v_writelane_b32 v22, s0, 1
	;; [unrolled: 2-line block ×3, first 2 shown]
	s_mov_b32 s29, s11
	s_waitcnt lgkmcnt(0)
	v_pk_mov_b32 v[4:5], s[40:41], s[40:41] op_sel:[0,1]
	v_writelane_b32 v22, s0, 3
	s_mul_i32 s0, s38, s37
	s_mul_hi_u32 s1, s38, s36
	s_add_i32 s0, s1, s0
	v_cmp_lt_i64_e64 s[2:3], s[28:29], v[4:5]
	s_mul_i32 s1, s39, s36
	v_writelane_b32 v22, s2, 4
	s_add_i32 s1, s0, s1
	s_mul_i32 s0, s38, s36
	v_writelane_b32 v22, s3, 5
	s_lshl_b64 s[0:1], s[0:1], 1
	v_writelane_b32 v22, s0, 6
	v_writelane_b32 v22, s1, 7
	s_lshl_b64 s[0:1], s[36:37], 1
	v_writelane_b32 v22, s0, 8
	v_writelane_b32 v22, s1, 9
	v_writelane_b32 v22, s28, 10
	v_writelane_b32 v22, s29, 11
	s_mov_b32 s78, s38
	s_mov_b32 s47, s39
	;; [unrolled: 1-line block ×16, first 2 shown]
	v_pk_mov_b32 v[4:5], s[38:39], s[38:39] op_sel:[0,1]
	v_writelane_b32 v22, s36, 12
	v_writelane_b32 v22, s37, 13
	;; [unrolled: 1-line block ×3, first 2 shown]
	s_load_dwordx4 s[24:27], s[4:5], 0x0
	s_load_dwordx8 s[12:19], s[4:5], 0x28
	s_load_dwordx2 s[34:35], s[4:5], 0x48
	s_load_dword s23, s[30:31], 0x4
	v_writelane_b32 v22, s39, 15
	v_writelane_b32 v22, s30, 16
	;; [unrolled: 1-line block ×3, first 2 shown]
	v_pk_mov_b32 v[6:7], s[40:41], s[40:41] op_sel:[0,1]
	v_writelane_b32 v22, s40, 18
	v_writelane_b32 v22, s41, 19
	s_waitcnt lgkmcnt(0)
	s_sub_i32 s33, 0, s14
	v_writelane_b32 v22, s23, 20
	v_lshlrev_b64 v[0:1], 1, v[0:1]
	v_writelane_b32 v22, s33, 21
	v_mov_b32_e32 v3, s27
	v_add_co_u32_e32 v2, vcc, s26, v0
	v_writelane_b32 v22, s74, 22
	v_addc_co_u32_e32 v3, vcc, v3, v1, vcc
	s_mov_b32 s46, s12
	s_mov_b32 s55, s12
	;; [unrolled: 1-line block ×26, first 2 shown]
	v_mov_b32_e32 v10, 0x4f800000
	s_mov_b64 s[20:21], s[10:11]
	v_writelane_b32 v22, s77, 23
	v_writelane_b32 v22, s79, 24
	s_branch .LBB45_4
.LBB45_3:                               ;   in Loop: Header=BB45_4 Depth=1
	s_add_u32 s20, s20, s23
	s_addc_u32 s21, s21, 0
	v_cmp_ge_i64_e32 vcc, s[20:21], v[4:5]
	s_cbranch_vccnz .LBB45_16
.LBB45_4:                               ; =>This Loop Header: Depth=1
                                        ;     Child Loop BB45_10 Depth 2
                                        ;     Child Loop BB45_14 Depth 2
	v_readlane_b32 s0, v22, 4
	v_readlane_b32 s1, v22, 5
	s_andn2_b64 vcc, exec, s[0:1]
	s_cbranch_vccnz .LBB45_3
; %bb.5:                                ;   in Loop: Header=BB45_4 Depth=1
	s_load_dword s10, s[30:31], 0x8
	v_pk_mov_b32 v[8:9], s[40:41], s[40:41] op_sel:[0,1]
	s_waitcnt lgkmcnt(0)
	s_add_u32 s0, s28, s10
	s_addc_u32 s1, 0, 0
	v_pk_mov_b32 v[12:13], s[0:1], s[0:1] op_sel:[0,1]
	v_cmp_lt_i64_e64 s[2:3], s[0:1], v[8:9]
	v_cmp_gt_i64_e32 vcc, s[40:41], v[12:13]
	v_cndmask_b32_e64 v8, 0, 1, s[2:3]
	s_and_b64 s[4:5], vcc, exec
	s_cselect_b32 s5, s40, s0
	v_readfirstlane_b32 s6, v8
	s_cselect_b32 s4, s41, s1
	s_sub_u32 s5, s5, s6
	s_subb_u32 s4, s4, 0
	s_sub_u32 s0, s5, s0
	s_subb_u32 s5, s4, s1
	s_mov_b32 s4, s11
	s_cmp_lg_u64 s[4:5], 0
	s_cbranch_scc0 .LBB45_15
; %bb.6:                                ;   in Loop: Header=BB45_4 Depth=1
	v_cvt_f32_u32_e32 v8, s10
	s_sub_u32 s1, 0, s10
	s_subb_u32 s4, 0, 0
	v_mac_f32_e32 v8, 0, v10
	v_rcp_f32_e32 v8, v8
	v_mul_f32_e32 v8, 0x5f7ffffc, v8
	v_mul_f32_e32 v9, 0x2f800000, v8
	v_trunc_f32_e32 v9, v9
	v_mac_f32_e32 v8, 0xcf800000, v9
	v_cvt_u32_f32_e32 v9, v9
	v_cvt_u32_f32_e32 v8, v8
	v_readfirstlane_b32 s6, v9
	v_readfirstlane_b32 s7, v8
	s_mul_i32 s8, s1, s6
	s_mul_hi_u32 s14, s1, s7
	s_mul_i32 s9, s4, s7
	s_add_i32 s8, s14, s8
	s_mul_i32 s15, s1, s7
	s_add_i32 s8, s8, s9
	s_mul_hi_u32 s14, s7, s15
	s_mul_hi_u32 s9, s7, s8
	s_mul_i32 s7, s7, s8
	s_add_u32 s7, s14, s7
	s_addc_u32 s9, 0, s9
	s_mul_hi_u32 s22, s6, s15
	s_mul_i32 s15, s6, s15
	s_add_u32 s7, s7, s15
	s_mul_hi_u32 s14, s6, s8
	s_addc_u32 s7, s9, s22
	s_addc_u32 s9, s14, 0
	s_mul_i32 s8, s6, s8
	s_add_u32 s7, s7, s8
	s_addc_u32 s8, 0, s9
	v_add_co_u32_e32 v8, vcc, s7, v8
	s_cmp_lg_u64 vcc, 0
	s_addc_u32 s6, s6, s8
	v_readfirstlane_b32 s8, v8
	s_mul_i32 s7, s1, s6
	s_mul_hi_u32 s9, s1, s8
	s_add_i32 s7, s9, s7
	s_mul_i32 s4, s4, s8
	s_add_i32 s7, s7, s4
	s_mul_i32 s1, s1, s8
	s_mul_hi_u32 s9, s6, s1
	s_mul_i32 s14, s6, s1
	s_mul_i32 s22, s8, s7
	s_mul_hi_u32 s1, s8, s1
	s_mul_hi_u32 s15, s8, s7
	s_add_u32 s1, s1, s22
	s_addc_u32 s8, 0, s15
	s_add_u32 s1, s1, s14
	s_mul_hi_u32 s4, s6, s7
	s_addc_u32 s1, s8, s9
	s_addc_u32 s4, s4, 0
	s_mul_i32 s7, s6, s7
	s_add_u32 s1, s1, s7
	s_addc_u32 s4, 0, s4
	v_add_co_u32_e32 v8, vcc, s1, v8
	s_cmp_lg_u64 vcc, 0
	s_addc_u32 s1, s6, s4
	v_readfirstlane_b32 s7, v8
	s_mul_i32 s6, s0, s1
	s_mul_hi_u32 s8, s0, s7
	s_mul_hi_u32 s4, s0, s1
	s_add_u32 s6, s8, s6
	s_addc_u32 s4, 0, s4
	s_mul_hi_u32 s9, s5, s7
	s_mul_i32 s7, s5, s7
	s_add_u32 s6, s6, s7
	s_mul_hi_u32 s8, s5, s1
	s_addc_u32 s4, s4, s9
	s_addc_u32 s6, s8, 0
	s_mul_i32 s1, s5, s1
	s_add_u32 s1, s4, s1
	s_addc_u32 s4, 0, s6
	s_add_u32 s6, s1, 1
	s_addc_u32 s7, s4, 0
	s_add_u32 s8, s1, 2
	s_mul_i32 s14, s10, s4
	s_mul_hi_u32 s15, s10, s1
	s_addc_u32 s9, s4, 0
	s_add_i32 s15, s15, s14
	s_mul_i32 s14, s10, s1
	v_mov_b32_e32 v8, s14
	v_sub_co_u32_e32 v8, vcc, s0, v8
	s_cmp_lg_u64 vcc, 0
	s_subb_u32 s5, s5, s15
	v_subrev_co_u32_e32 v9, vcc, s10, v8
	s_cmp_lg_u64 vcc, 0
	s_subb_u32 s14, s5, 0
	v_readfirstlane_b32 s15, v9
	s_cmp_ge_u32 s15, s10
	s_cselect_b32 s15, -1, 0
	s_cmp_eq_u32 s14, 0
	s_cselect_b32 s14, s15, -1
	s_cmp_lg_u32 s14, 0
	s_cselect_b32 s6, s8, s6
	v_readfirstlane_b32 s8, v8
	s_cselect_b32 s7, s9, s7
	s_cmp_ge_u32 s8, s10
	s_cselect_b32 s8, -1, 0
	s_cmp_eq_u32 s5, 0
	s_cselect_b32 s5, s8, -1
	s_cmp_lg_u32 s5, 0
	s_cselect_b32 s5, s7, s4
	s_cselect_b32 s4, s6, s1
	s_cbranch_execnz .LBB45_8
.LBB45_7:                               ;   in Loop: Header=BB45_4 Depth=1
	v_cvt_f32_u32_e32 v8, s10
	s_sub_i32 s1, 0, s10
	v_rcp_iflag_f32_e32 v8, v8
	v_mul_f32_e32 v8, 0x4f7ffffe, v8
	v_cvt_u32_f32_e32 v8, v8
	v_readfirstlane_b32 s4, v8
	s_mul_i32 s1, s1, s4
	s_mul_hi_u32 s1, s4, s1
	s_add_i32 s4, s4, s1
	s_mul_hi_u32 s1, s0, s4
	s_mul_i32 s5, s1, s10
	s_sub_i32 s0, s0, s5
	s_add_i32 s4, s1, 1
	s_sub_i32 s5, s0, s10
	s_cmp_ge_u32 s0, s10
	s_cselect_b32 s1, s4, s1
	s_cselect_b32 s0, s5, s0
	s_add_i32 s4, s1, 1
	s_cmp_ge_u32 s0, s10
	s_cselect_b32 s4, s4, s1
	s_mov_b32 s5, s11
.LBB45_8:                               ;   in Loop: Header=BB45_4 Depth=1
	s_mul_i32 s0, s20, s17
	s_mul_hi_u32 s1, s20, s16
	s_add_i32 s0, s1, s0
	s_mul_i32 s1, s21, s16
	s_add_i32 s37, s0, s1
	s_and_b64 s[0:1], s[2:3], exec
	s_cselect_b32 s0, 2, 1
	s_add_u32 s6, s0, s4
	s_addc_u32 s7, 0, s5
	v_cmp_gt_u64_e64 s[0:1], s[6:7], 3
	s_mul_i32 s36, s20, s16
	s_mov_b64 s[2:3], -1
	s_and_b64 vcc, exec, s[0:1]
	s_mov_b64 s[4:5], s[28:29]
	s_cbranch_vccz .LBB45_12
; %bb.9:                                ;   in Loop: Header=BB45_4 Depth=1
	s_and_b32 s44, s6, -4
	v_writelane_b32 v22, s6, 25
	v_writelane_b32 v22, s7, 26
	s_lshl_b64 s[0:1], s[10:11], 1
	v_readlane_b32 s4, v22, 2
	s_add_u32 s95, s4, s0
	s_mul_i32 s3, s10, 3
	s_addc_u32 s50, 0, s1
	v_readlane_b32 s0, v22, 3
	s_mul_hi_u32 s2, s10, 3
	s_add_u32 s51, s0, s3
	s_addc_u32 s48, 0, s2
	s_add_u32 s49, s28, s10
	s_addc_u32 s33, 0, 0
	v_readlane_b32 s28, v22, 0
	v_readlane_b32 s29, v22, 1
	v_writelane_b32 v22, s10, 27
	s_lshl_b64 s[42:43], s[10:11], 2
	v_writelane_b32 v22, s11, 28
	s_mov_b32 s0, s42
	v_writelane_b32 v22, s0, 29
	s_mov_b32 s0, s43
	;; [unrolled: 2-line block ×10, first 2 shown]
	s_mov_b32 s45, s7
	v_writelane_b32 v22, s0, 38
	s_mov_b32 s40, s20
	s_mov_b32 s41, s21
	v_writelane_b32 v22, s44, 39
	v_writelane_b32 v22, s45, 40
.LBB45_10:                              ;   Parent Loop BB45_4 Depth=1
                                        ; =>  This Inner Loop Header: Depth=2
	s_mul_hi_u32 s2, s28, s46
	s_mul_i32 s3, s51, s73
	s_mul_i32 s6, s95, s72
	s_mul_hi_u32 s7, s95, s82
	s_mul_i32 s9, s49, s52
	s_mul_hi_u32 s38, s49, s80
	s_mul_i32 s39, s28, s47
	s_mov_b32 s0, s73
	s_mov_b32 s73, s46
	s_mul_hi_u32 s46, s28, s78
	s_mov_b32 s79, s53
	s_mul_hi_u32 s53, s51, s53
	s_add_i32 s2, s2, s28
	s_mul_i32 s8, s50, s82
	s_mov_b32 s74, s52
	s_mul_i32 s52, s29, s78
	s_mov_b32 s77, s54
	s_mul_hi_u32 s54, s95, s54
	s_add_i32 s6, s7, s6
	s_add_i32 s7, s38, s9
	;; [unrolled: 1-line block ×4, first 2 shown]
	s_lshr_b32 s2, s2, s81
	s_mul_hi_u32 s4, s51, s84
	s_mov_b32 s31, s72
	s_mov_b32 s72, s47
	s_mul_i32 s47, s33, s80
	s_add_i32 s54, s54, s95
	s_add_i32 s6, s6, s8
	;; [unrolled: 1-line block ×3, first 2 shown]
	s_lshr_b32 s8, s53, s87
	s_mul_i32 s9, s2, s60
	s_mul_i32 s5, s48, s84
	s_add_i32 s3, s4, s3
	s_mul_hi_u32 s4, s49, s55
	s_add_i32 s7, s7, s47
	s_lshr_b32 s47, s54, s58
	s_mul_i32 s39, s69, s8
	s_mul_hi_u32 s52, s68, s8
	s_mul_i32 vcc_lo, s68, s8
	s_mul_i32 s54, s8, s94
	s_sub_i32 s8, s28, s9
	s_add_i32 s4, s4, s49
	s_add_i32 s5, s3, s5
	s_mul_i32 s3, s35, s2
	s_mul_hi_u32 s38, s34, s2
	s_add_i32 vcc_hi, s52, s39
	s_mul_i32 s9, s26, s8
	s_mul_hi_u32 s39, s70, s8
	s_lshr_b32 s4, s4, s83
	s_add_i32 s3, s38, s3
	s_mul_i32 s38, s67, s47
	s_add_i32 s9, s39, s9
	s_mul_hi_u32 s39, s66, s47
	s_add_i32 s39, s39, s38
	s_mul_i32 s38, s66, s47
	s_mul_i32 s47, s47, s93
	;; [unrolled: 1-line block ×3, first 2 shown]
	s_mul_hi_u32 s53, s64, s4
	s_sub_i32 s54, s51, s54
	s_mul_i32 s8, s70, s8
	s_add_i32 s53, s53, s52
	s_mul_i32 s52, s64, s4
	s_mul_i32 s4, s4, s61
	s_sub_i32 s56, s95, s47
	s_mul_i32 s47, s75, s54
	s_mov_b32 s22, s70
	s_mov_b32 s70, s75
	;; [unrolled: 1-line block ×3, first 2 shown]
	s_mul_hi_u32 s55, s76, s54
	s_sub_i32 s4, s49, s4
	s_add_i32 s55, s55, s47
	s_mul_i32 s47, s71, s56
	s_mul_hi_u32 s57, s85, s56
	s_add_i32 s57, s57, s47
	s_mul_i32 s47, s27, s4
	s_mov_b32 s30, s76
	s_mov_b32 s76, s85
	s_mov_b32 s85, s58
	s_mul_hi_u32 s58, s91, s4
	s_add_i32 s59, s58, s47
	s_mul_i32 s47, s28, s78
	s_add_u32 s62, s47, s20
	s_addc_u32 s46, s46, s21
	s_mul_i32 s47, s49, s80
	v_readlane_b32 s1, v22, 35
	s_add_u32 s63, s47, s1
	v_readlane_b32 s1, v22, 36
	s_addc_u32 s7, s7, s1
	s_mul_i32 s47, s95, s82
	v_readlane_b32 s1, v22, 37
	s_mov_b32 s10, s65
	s_add_u32 s65, s47, s1
	v_readlane_b32 s1, v22, 38
	s_addc_u32 s6, s6, s1
	s_mul_i32 s47, s51, s84
	v_readlane_b32 s1, v22, 23
	s_mov_b32 s11, s67
	s_add_u32 s67, s47, s40
	s_mul_i32 s47, s65, s1
	s_mul_hi_u32 s58, s65, s90
	s_addc_u32 s5, s5, s41
	s_add_i32 s47, s58, s47
	s_mul_i32 s58, s63, s89
	s_mov_b32 s1, s89
	s_mov_b32 s89, s60
	s_mul_hi_u32 s60, s63, s88
	v_readlane_b32 s14, v22, 22
	s_add_i32 s58, s60, s58
	s_mul_i32 s60, s62, s14
	s_mov_b32 s23, s91
	s_mov_b32 s91, s61
	s_mul_hi_u32 s61, s62, s86
	v_readlane_b32 s15, v22, 24
	s_mul_i32 s2, s34, s2
	s_mov_b32 s14, s66
	s_mov_b32 s66, s27
	;; [unrolled: 1-line block ×5, first 2 shown]
	s_add_i32 s69, s61, s60
	s_mul_i32 s60, s67, s15
	s_mul_hi_u32 s61, s67, s92
	s_mov_b32 s15, s68
	s_mov_b32 s68, s71
	s_add_i32 s71, s61, s60
	s_mul_i32 s46, s46, s86
	s_mul_i32 s7, s7, s88
	;; [unrolled: 1-line block ×3, first 2 shown]
	s_lshl_b64 s[60:61], s[2:3], 1
	s_mul_i32 s2, s5, s92
	s_add_i32 s5, s47, s6
	s_add_i32 s7, s58, s7
	;; [unrolled: 1-line block ×4, first 2 shown]
	s_add_u32 s2, s24, s60
	s_addc_u32 s6, s25, s61
	s_lshl_b64 s[52:53], s[52:53], 1
	s_add_u32 s46, s24, s52
	s_addc_u32 s52, s25, s53
	s_lshl_b64 s[38:39], s[38:39], 1
	s_add_u32 s53, s24, s38
	s_addc_u32 s60, s25, s39
	s_lshl_b64 s[38:39], vcc, 1
	s_add_u32 s38, s24, s38
	s_addc_u32 s39, s25, s39
	s_lshl_b64 s[8:9], s[8:9], 1
	s_add_u32 s2, s2, s8
	s_mul_i32 s58, s23, s4
	s_addc_u32 s6, s6, s9
	s_lshl_b64 s[8:9], s[58:59], 1
	s_mov_b32 s58, s85
	s_mov_b32 s85, s76
	s_add_u32 s4, s46, s8
	s_mul_i32 s56, s85, s56
	s_addc_u32 s46, s52, s9
	s_lshl_b64 s[8:9], s[56:57], 1
	s_add_u32 s52, s53, s8
	s_mul_i32 s54, s30, s54
	s_addc_u32 s53, s60, s9
	s_lshl_b64 s[8:9], s[54:55], 1
	s_add_u32 s38, s38, s8
	s_addc_u32 s39, s39, s9
	s_lshl_b64 s[8:9], s[36:37], 1
	s_add_u32 s2, s2, s8
	s_addc_u32 s6, s6, s9
	v_mov_b32_e32 v9, s6
	v_add_co_u32_e32 v8, vcc, s2, v0
	s_add_u32 s2, s4, s8
	v_addc_co_u32_e32 v9, vcc, v9, v1, vcc
	s_addc_u32 s4, s46, s9
	v_mov_b32_e32 v11, s4
	v_add_co_u32_e32 v12, vcc, s2, v0
	s_add_u32 s2, s52, s8
	v_addc_co_u32_e32 v13, vcc, v11, v1, vcc
	s_addc_u32 s4, s53, s9
	s_add_u32 s6, s38, s8
	v_mov_b32_e32 v11, s4
	v_add_co_u32_e32 v14, vcc, s2, v0
	s_addc_u32 s8, s39, s9
	v_addc_co_u32_e32 v15, vcc, v11, v1, vcc
	global_load_ushort v11, v[8:9], off
	global_load_ushort v18, v[12:13], off
	v_mov_b32_e32 v9, s8
	v_add_co_u32_e32 v8, vcc, s6, v0
	global_load_ushort v19, v[14:15], off
	v_addc_co_u32_e32 v9, vcc, v9, v1, vcc
	global_load_ushort v20, v[8:9], off
	s_mul_i32 s46, s62, s86
	s_mul_i32 s6, s63, s88
	;; [unrolled: 1-line block ×4, first 2 shown]
	s_lshl_b64 s[8:9], s[46:47], 1
	s_mov_b32 s46, s73
	s_mov_b32 s73, s0
	s_lshl_b64 s[6:7], s[6:7], 1
	s_lshl_b64 s[4:5], s[4:5], 1
	;; [unrolled: 1-line block ×3, first 2 shown]
	v_readlane_b32 s0, v22, 33
	s_add_u32 s51, s51, s0
	v_readlane_b32 s0, v22, 34
	s_addc_u32 s48, s48, s0
	v_readlane_b32 s0, v22, 31
	s_add_u32 s95, s95, s0
	v_readlane_b32 s0, v22, 32
	s_addc_u32 s50, s50, s0
	;; [unrolled: 4-line block ×3, first 2 shown]
	s_add_u32 s28, s28, s42
	s_addc_u32 s29, s29, s43
	s_add_u32 s44, s44, -4
	v_mov_b32_e32 v9, s9
	v_mov_b32_e32 v13, s7
	v_add_co_u32_e32 v8, vcc, s6, v2
	v_add_co_u32_e64 v16, s[6:7], s8, v2
	s_addc_u32 s45, s45, -1
	s_mov_b32 s69, s26
	s_mov_b32 s26, s64
	;; [unrolled: 1-line block ×22, first 2 shown]
	v_mov_b32_e32 v15, s5
	v_add_co_u32_e64 v12, s[2:3], s4, v2
	v_mov_b32_e32 v21, s39
	v_add_co_u32_e64 v14, s[4:5], s38, v2
	v_addc_co_u32_e64 v17, s[6:7], v3, v9, s[6:7]
	s_cmp_lg_u64 s[44:45], 0
	v_addc_co_u32_e32 v9, vcc, v3, v13, vcc
	v_addc_co_u32_e64 v13, vcc, v3, v15, s[2:3]
	v_addc_co_u32_e64 v15, vcc, v3, v21, s[4:5]
	s_waitcnt vmcnt(3)
	v_lshlrev_b32_e32 v11, 16, v11
	v_cvt_f16_f32_e32 v11, v11
	s_waitcnt vmcnt(2)
	v_lshlrev_b32_e32 v18, 16, v18
	v_cvt_f16_f32_e32 v18, v18
	;; [unrolled: 3-line block ×4, first 2 shown]
	global_store_short v[16:17], v11, off
	global_store_short v[8:9], v18, off
	;; [unrolled: 1-line block ×4, first 2 shown]
	s_cbranch_scc1 .LBB45_10
; %bb.11:                               ;   in Loop: Header=BB45_4 Depth=1
	v_readlane_b32 s2, v22, 39
	v_readlane_b32 s10, v22, 27
	;; [unrolled: 1-line block ×3, first 2 shown]
	s_mul_i32 s0, s3, s10
	s_mul_hi_u32 s1, s2, s10
	s_add_i32 s1, s1, s0
	s_mul_i32 s0, s2, s10
	v_readlane_b32 s28, v22, 10
	s_add_u32 s4, s0, s28
	s_addc_u32 s5, s1, 0
	v_readlane_b32 s0, v22, 25
	v_readlane_b32 s40, v22, 12
	;; [unrolled: 1-line block ×4, first 2 shown]
	s_cmp_lg_u64 s[0:1], s[2:3]
	v_readlane_b32 s42, v22, 14
	v_readlane_b32 s43, v22, 15
	;; [unrolled: 1-line block ×6, first 2 shown]
	s_cselect_b64 s[2:3], -1, 0
	s_mov_b64 s[38:39], s[42:43]
	v_readlane_b32 s31, v22, 17
	v_readlane_b32 s41, v22, 19
	;; [unrolled: 1-line block ×7, first 2 shown]
.LBB45_12:                              ;   in Loop: Header=BB45_4 Depth=1
	s_and_b64 vcc, exec, s[2:3]
	s_cbranch_vccz .LBB45_3
; %bb.13:                               ;   in Loop: Header=BB45_4 Depth=1
	s_mul_i32 s0, s38, s5
	s_mul_hi_u32 s1, s38, s4
	s_add_i32 s0, s1, s0
	s_mul_i32 s1, s39, s4
	s_add_i32 s0, s0, s1
	s_mul_i32 s1, s38, s4
	s_add_u32 s1, s20, s1
	v_readlane_b32 s6, v22, 8
	s_addc_u32 s0, s21, s0
	v_readlane_b32 s7, v22, 9
	s_mul_i32 s2, s7, s1
	s_mul_i32 s0, s6, s0
	v_mov_b32_e32 v8, s1
	s_add_i32 s2, s0, s2
	v_mad_u64_u32 v[8:9], s[0:1], s6, v8, v[2:3]
	v_add_u32_e32 v9, s2, v9
	v_readlane_b32 s2, v22, 6
	v_readlane_b32 s3, v22, 7
	s_mul_i32 s0, s3, s10
	s_mul_hi_u32 s1, s2, s10
	s_add_i32 s1, s1, s0
	s_mul_i32 s0, s2, s10
	v_mov_b32_e32 v11, s1
.LBB45_14:                              ;   Parent Loop BB45_4 Depth=1
                                        ; =>  This Inner Loop Header: Depth=2
	s_mul_hi_u32 s1, s12, s4
	s_add_i32 s1, s4, s1
	s_lshr_b32 s1, s1, s13
	s_mul_i32 s3, s33, s1
	s_mul_i32 s6, s1, s35
	s_mul_hi_u32 s7, s1, s34
	s_mul_i32 s2, s1, s34
	s_add_i32 s1, s4, s3
	s_add_i32 s3, s7, s6
	s_mul_i32 s7, s1, s19
	s_mul_hi_u32 s8, s1, s18
	s_lshl_b64 s[2:3], s[2:3], 1
	s_add_i32 s7, s8, s7
	s_mul_i32 s6, s1, s18
	s_add_u32 s1, s24, s2
	s_addc_u32 s8, s25, s3
	s_lshl_b64 s[2:3], s[6:7], 1
	s_add_u32 s1, s1, s2
	s_addc_u32 s6, s8, s3
	s_lshl_b64 s[2:3], s[36:37], 1
	s_add_u32 s1, s1, s2
	s_addc_u32 s2, s6, s3
	v_mov_b32_e32 v13, s2
	v_add_co_u32_e32 v12, vcc, s1, v0
	v_addc_co_u32_e32 v13, vcc, v13, v1, vcc
	global_load_ushort v12, v[12:13], off
	s_add_u32 s4, s4, s10
	s_addc_u32 s5, s5, 0
	v_cmp_ge_i64_e32 vcc, s[4:5], v[6:7]
	s_and_b64 vcc, exec, vcc
	s_waitcnt vmcnt(0)
	v_lshlrev_b32_e32 v12, 16, v12
	v_cvt_f16_f32_e32 v12, v12
	global_store_short v[8:9], v12, off
	v_add_co_u32_e64 v8, s[2:3], s0, v8
	v_addc_co_u32_e64 v9, s[2:3], v9, v11, s[2:3]
	s_cbranch_vccz .LBB45_14
	s_branch .LBB45_3
.LBB45_15:                              ;   in Loop: Header=BB45_4 Depth=1
                                        ; implicit-def: $sgpr4_sgpr5
	s_branch .LBB45_7
.LBB45_16:
	s_endpgm
	.section	.rodata,"a",@progbits
	.p2align	6, 0x0
	.amdhsa_kernel _ZL13convert_unaryI14__hip_bfloat166__halfEvPKvPT0_lll15HIP_vector_typeIjLj3EElll
		.amdhsa_group_segment_fixed_size 0
		.amdhsa_private_segment_fixed_size 0
		.amdhsa_kernarg_size 336
		.amdhsa_user_sgpr_count 6
		.amdhsa_user_sgpr_private_segment_buffer 1
		.amdhsa_user_sgpr_dispatch_ptr 0
		.amdhsa_user_sgpr_queue_ptr 0
		.amdhsa_user_sgpr_kernarg_segment_ptr 1
		.amdhsa_user_sgpr_dispatch_id 0
		.amdhsa_user_sgpr_flat_scratch_init 0
		.amdhsa_user_sgpr_kernarg_preload_length 0
		.amdhsa_user_sgpr_kernarg_preload_offset 0
		.amdhsa_user_sgpr_private_segment_size 0
		.amdhsa_uses_dynamic_stack 0
		.amdhsa_system_sgpr_private_segment_wavefront_offset 0
		.amdhsa_system_sgpr_workgroup_id_x 1
		.amdhsa_system_sgpr_workgroup_id_y 1
		.amdhsa_system_sgpr_workgroup_id_z 1
		.amdhsa_system_sgpr_workgroup_info 0
		.amdhsa_system_vgpr_workitem_id 0
		.amdhsa_next_free_vgpr 23
		.amdhsa_next_free_sgpr 96
		.amdhsa_accum_offset 24
		.amdhsa_reserve_vcc 1
		.amdhsa_reserve_flat_scratch 0
		.amdhsa_float_round_mode_32 0
		.amdhsa_float_round_mode_16_64 0
		.amdhsa_float_denorm_mode_32 3
		.amdhsa_float_denorm_mode_16_64 3
		.amdhsa_dx10_clamp 1
		.amdhsa_ieee_mode 1
		.amdhsa_fp16_overflow 0
		.amdhsa_tg_split 0
		.amdhsa_exception_fp_ieee_invalid_op 0
		.amdhsa_exception_fp_denorm_src 0
		.amdhsa_exception_fp_ieee_div_zero 0
		.amdhsa_exception_fp_ieee_overflow 0
		.amdhsa_exception_fp_ieee_underflow 0
		.amdhsa_exception_fp_ieee_inexact 0
		.amdhsa_exception_int_div_zero 0
	.end_amdhsa_kernel
	.section	.text._ZL13convert_unaryI14__hip_bfloat166__halfEvPKvPT0_lll15HIP_vector_typeIjLj3EElll,"axG",@progbits,_ZL13convert_unaryI14__hip_bfloat166__halfEvPKvPT0_lll15HIP_vector_typeIjLj3EElll,comdat
.Lfunc_end45:
	.size	_ZL13convert_unaryI14__hip_bfloat166__halfEvPKvPT0_lll15HIP_vector_typeIjLj3EElll, .Lfunc_end45-_ZL13convert_unaryI14__hip_bfloat166__halfEvPKvPT0_lll15HIP_vector_typeIjLj3EElll
                                        ; -- End function
	.section	.AMDGPU.csdata,"",@progbits
; Kernel info:
; codeLenInByte = 3292
; NumSgprs: 100
; NumVgprs: 23
; NumAgprs: 0
; TotalNumVgprs: 23
; ScratchSize: 0
; MemoryBound: 0
; FloatMode: 240
; IeeeMode: 1
; LDSByteSize: 0 bytes/workgroup (compile time only)
; SGPRBlocks: 12
; VGPRBlocks: 2
; NumSGPRsForWavesPerEU: 100
; NumVGPRsForWavesPerEU: 23
; AccumOffset: 24
; Occupancy: 8
; WaveLimiterHint : 0
; COMPUTE_PGM_RSRC2:SCRATCH_EN: 0
; COMPUTE_PGM_RSRC2:USER_SGPR: 6
; COMPUTE_PGM_RSRC2:TRAP_HANDLER: 0
; COMPUTE_PGM_RSRC2:TGID_X_EN: 1
; COMPUTE_PGM_RSRC2:TGID_Y_EN: 1
; COMPUTE_PGM_RSRC2:TGID_Z_EN: 1
; COMPUTE_PGM_RSRC2:TIDIG_COMP_CNT: 0
; COMPUTE_PGM_RSRC3_GFX90A:ACCUM_OFFSET: 5
; COMPUTE_PGM_RSRC3_GFX90A:TG_SPLIT: 0
	.section	.text._ZL13convert_unaryIf14__hip_bfloat16EvPKvPT0_lll15HIP_vector_typeIjLj3EElll,"axG",@progbits,_ZL13convert_unaryIf14__hip_bfloat16EvPKvPT0_lll15HIP_vector_typeIjLj3EElll,comdat
	.globl	_ZL13convert_unaryIf14__hip_bfloat16EvPKvPT0_lll15HIP_vector_typeIjLj3EElll ; -- Begin function _ZL13convert_unaryIf14__hip_bfloat16EvPKvPT0_lll15HIP_vector_typeIjLj3EElll
	.p2align	8
	.type	_ZL13convert_unaryIf14__hip_bfloat16EvPKvPT0_lll15HIP_vector_typeIjLj3EElll,@function
_ZL13convert_unaryIf14__hip_bfloat16EvPKvPT0_lll15HIP_vector_typeIjLj3EElll: ; @_ZL13convert_unaryIf14__hip_bfloat16EvPKvPT0_lll15HIP_vector_typeIjLj3EElll
; %bb.0:
	s_load_dword s0, s[4:5], 0x5c
	s_load_dwordx4 s[20:23], s[4:5], 0x10
	s_add_u32 s28, s4, 0x50
	s_addc_u32 s29, s5, 0
	v_mov_b32_e32 v1, 0
	s_waitcnt lgkmcnt(0)
	s_and_b32 s0, s0, 0xffff
	v_mov_b32_e32 v2, s6
	v_mad_u64_u32 v[2:3], s[0:1], s0, v2, v[0:1]
	v_cmp_gt_i64_e32 vcc, s[20:21], v[2:3]
	s_and_saveexec_b64 s[0:1], vcc
	s_cbranch_execz .LBB46_20
; %bb.1:
	s_mov_b32 s10, s7
	s_load_dwordx2 s[6:7], s[4:5], 0x20
	s_mov_b32 s11, 0
	v_pk_mov_b32 v[0:1], s[22:23], s[22:23] op_sel:[0,1]
	v_cmp_ge_i64_e32 vcc, s[10:11], v[0:1]
	s_cbranch_vccnz .LBB46_20
; %bb.2:
	s_load_dwordx4 s[24:27], s[4:5], 0x0
	s_load_dwordx8 s[12:19], s[4:5], 0x28
	s_load_dwordx2 s[30:31], s[4:5], 0x48
	s_waitcnt lgkmcnt(0)
	s_load_dword s15, s[28:29], 0x4
	v_lshlrev_b64 v[0:1], 1, v[2:3]
	s_mul_i32 s0, s22, s21
	s_mul_hi_u32 s1, s22, s20
	v_mov_b32_e32 v4, s27
	v_add_co_u32_e32 v0, vcc, s26, v0
	s_add_i32 s0, s1, s0
	s_mul_i32 s1, s23, s20
	s_mov_b32 s9, s11
	v_addc_co_u32_e32 v1, vcc, v4, v1, vcc
	v_pk_mov_b32 v[4:5], s[6:7], s[6:7] op_sel:[0,1]
	s_add_i32 s1, s0, s1
	s_mul_i32 s0, s22, s20
	s_mov_b32 s33, s8
	s_mov_b32 s44, s11
	s_mov_b32 s45, s12
	s_mov_b32 s46, s12
	s_mov_b32 s47, s13
	s_mov_b32 s48, s13
	s_mov_b32 s49, s14
	s_mov_b32 s50, s30
	s_mov_b32 s51, s31
	s_mov_b32 s52, s18
	s_mov_b32 s53, s19
	s_mov_b32 s54, s18
	s_mov_b32 s55, s19
	s_mov_b32 s56, s22
	s_mov_b32 s57, s23
	s_mov_b32 s58, s22
	s_mov_b32 s59, s23
	s_mov_b32 s60, s20
	s_mov_b32 s61, s21
	s_mov_b32 s62, s20
	s_mov_b32 s63, s21
	s_lshl_b64 s[4:5], s[20:21], 1
	s_lshl_b64 s[20:21], s[0:1], 1
	s_sub_i32 s64, 0, s14
	v_cmp_lt_i64_e64 s[0:1], s[8:9], v[4:5]
	v_lshlrev_b64 v[2:3], 2, v[2:3]
	s_mov_b32 s65, 0x7f800000
	s_movk_i32 s66, 0x7fff
	v_pk_mov_b32 v[6:7], s[22:23], s[22:23] op_sel:[0,1]
	v_mov_b32_e32 v10, 0x4f800000
	v_mov_b32_e32 v11, 0
	s_mov_b64 s[26:27], s[10:11]
	s_branch .LBB46_4
.LBB46_3:                               ;   in Loop: Header=BB46_4 Depth=1
	s_waitcnt lgkmcnt(0)
	s_add_u32 s26, s26, s15
	s_addc_u32 s27, s27, 0
	v_cmp_ge_i64_e32 vcc, s[26:27], v[6:7]
	s_cbranch_vccnz .LBB46_20
.LBB46_4:                               ; =>This Loop Header: Depth=1
                                        ;     Child Loop BB46_10 Depth 2
                                        ;     Child Loop BB46_15 Depth 2
	s_andn2_b64 vcc, exec, s[0:1]
	s_cbranch_vccnz .LBB46_3
; %bb.5:                                ;   in Loop: Header=BB46_4 Depth=1
	s_load_dword s10, s[28:29], 0x8
	v_pk_mov_b32 v[8:9], s[6:7], s[6:7] op_sel:[0,1]
	s_waitcnt lgkmcnt(0)
	s_add_u32 s34, s8, s10
	s_addc_u32 s35, 0, 0
	v_pk_mov_b32 v[12:13], s[34:35], s[34:35] op_sel:[0,1]
	v_cmp_lt_i64_e64 s[2:3], s[34:35], v[8:9]
	v_cmp_gt_i64_e32 vcc, s[6:7], v[12:13]
	v_cndmask_b32_e64 v8, 0, 1, s[2:3]
	s_and_b64 s[36:37], vcc, exec
	s_cselect_b32 s37, s6, s34
	v_readfirstlane_b32 s38, v8
	s_cselect_b32 s36, s7, s35
	s_sub_u32 s37, s37, s38
	s_subb_u32 s36, s36, 0
	s_sub_u32 s38, s37, s34
	s_subb_u32 s35, s36, s35
	s_mov_b32 s34, s11
	s_cmp_lg_u64 s[34:35], 0
	s_cbranch_scc0 .LBB46_19
; %bb.6:                                ;   in Loop: Header=BB46_4 Depth=1
	v_cvt_f32_u32_e32 v8, s10
	s_sub_u32 s34, 0, s10
	s_subb_u32 s36, 0, 0
	v_mac_f32_e32 v8, 0, v10
	v_rcp_f32_e32 v8, v8
	v_mul_f32_e32 v8, 0x5f7ffffc, v8
	v_mul_f32_e32 v9, 0x2f800000, v8
	v_trunc_f32_e32 v9, v9
	v_mac_f32_e32 v8, 0xcf800000, v9
	v_cvt_u32_f32_e32 v9, v9
	v_cvt_u32_f32_e32 v8, v8
	v_readfirstlane_b32 s37, v9
	v_readfirstlane_b32 s39, v8
	s_mul_i32 s40, s34, s37
	s_mul_hi_u32 s42, s34, s39
	s_mul_i32 s41, s36, s39
	s_add_i32 s40, s42, s40
	s_mul_i32 s43, s34, s39
	s_add_i32 s40, s40, s41
	s_mul_hi_u32 s42, s39, s43
	s_mul_hi_u32 s41, s39, s40
	s_mul_i32 s39, s39, s40
	s_add_u32 s39, s42, s39
	s_addc_u32 s41, 0, s41
	s_mul_hi_u32 s67, s37, s43
	s_mul_i32 s43, s37, s43
	s_add_u32 s39, s39, s43
	s_mul_hi_u32 s42, s37, s40
	s_addc_u32 s39, s41, s67
	s_addc_u32 s41, s42, 0
	s_mul_i32 s40, s37, s40
	s_add_u32 s39, s39, s40
	s_addc_u32 s40, 0, s41
	v_add_co_u32_e32 v8, vcc, s39, v8
	s_cmp_lg_u64 vcc, 0
	s_addc_u32 s37, s37, s40
	v_readfirstlane_b32 s40, v8
	s_mul_i32 s39, s34, s37
	s_mul_hi_u32 s41, s34, s40
	s_add_i32 s39, s41, s39
	s_mul_i32 s36, s36, s40
	s_add_i32 s39, s39, s36
	s_mul_i32 s34, s34, s40
	s_mul_hi_u32 s41, s37, s34
	s_mul_i32 s42, s37, s34
	s_mul_i32 s67, s40, s39
	s_mul_hi_u32 s34, s40, s34
	s_mul_hi_u32 s43, s40, s39
	s_add_u32 s34, s34, s67
	s_addc_u32 s40, 0, s43
	s_add_u32 s34, s34, s42
	s_mul_hi_u32 s36, s37, s39
	s_addc_u32 s34, s40, s41
	s_addc_u32 s36, s36, 0
	s_mul_i32 s39, s37, s39
	s_add_u32 s34, s34, s39
	s_addc_u32 s36, 0, s36
	v_add_co_u32_e32 v8, vcc, s34, v8
	s_cmp_lg_u64 vcc, 0
	s_addc_u32 s34, s37, s36
	v_readfirstlane_b32 s39, v8
	s_mul_i32 s37, s38, s34
	s_mul_hi_u32 s40, s38, s39
	s_mul_hi_u32 s36, s38, s34
	s_add_u32 s37, s40, s37
	s_addc_u32 s36, 0, s36
	s_mul_hi_u32 s41, s35, s39
	s_mul_i32 s39, s35, s39
	s_add_u32 s37, s37, s39
	s_mul_hi_u32 s40, s35, s34
	s_addc_u32 s36, s36, s41
	s_addc_u32 s37, s40, 0
	s_mul_i32 s34, s35, s34
	s_add_u32 s34, s36, s34
	s_addc_u32 s36, 0, s37
	s_add_u32 s37, s34, 1
	s_addc_u32 s39, s36, 0
	s_add_u32 s40, s34, 2
	s_mul_i32 s42, s10, s36
	s_mul_hi_u32 s43, s10, s34
	s_addc_u32 s41, s36, 0
	s_add_i32 s43, s43, s42
	s_mul_i32 s42, s10, s34
	v_mov_b32_e32 v8, s42
	v_sub_co_u32_e32 v8, vcc, s38, v8
	s_cmp_lg_u64 vcc, 0
	s_subb_u32 s35, s35, s43
	v_subrev_co_u32_e32 v9, vcc, s10, v8
	s_cmp_lg_u64 vcc, 0
	s_subb_u32 s42, s35, 0
	v_readfirstlane_b32 s43, v9
	s_cmp_ge_u32 s43, s10
	s_cselect_b32 s43, -1, 0
	s_cmp_eq_u32 s42, 0
	s_cselect_b32 s42, s43, -1
	s_cmp_lg_u32 s42, 0
	s_cselect_b32 s40, s40, s37
	s_cselect_b32 s37, s41, s39
	v_readfirstlane_b32 s39, v8
	s_cmp_ge_u32 s39, s10
	s_cselect_b32 s39, -1, 0
	s_cmp_eq_u32 s35, 0
	s_cselect_b32 s35, s39, -1
	s_cmp_lg_u32 s35, 0
	s_cselect_b32 s37, s37, s36
	s_cselect_b32 s36, s40, s34
	s_cbranch_execnz .LBB46_8
.LBB46_7:                               ;   in Loop: Header=BB46_4 Depth=1
	v_cvt_f32_u32_e32 v8, s10
	s_sub_i32 s34, 0, s10
	v_rcp_iflag_f32_e32 v8, v8
	v_mul_f32_e32 v8, 0x4f7ffffe, v8
	v_cvt_u32_f32_e32 v8, v8
	v_readfirstlane_b32 s35, v8
	s_mul_i32 s34, s34, s35
	s_mul_hi_u32 s34, s35, s34
	s_add_i32 s35, s35, s34
	s_mul_hi_u32 s34, s38, s35
	s_mul_i32 s36, s34, s10
	s_sub_i32 s36, s38, s36
	s_add_i32 s35, s34, 1
	s_sub_i32 s37, s36, s10
	s_cmp_ge_u32 s36, s10
	s_cselect_b32 s34, s35, s34
	s_cselect_b32 s36, s37, s36
	s_add_i32 s35, s34, 1
	s_cmp_ge_u32 s36, s10
	s_cselect_b32 s36, s35, s34
	s_mov_b32 s37, s11
.LBB46_8:                               ;   in Loop: Header=BB46_4 Depth=1
	s_mul_i32 s34, s26, s17
	s_mul_hi_u32 s35, s26, s16
	s_add_i32 s34, s35, s34
	s_mul_i32 s35, s27, s16
	s_add_i32 s35, s34, s35
	s_and_b64 s[2:3], s[2:3], exec
	s_cselect_b32 s2, 2, 1
	s_add_u32 s36, s2, s36
	s_addc_u32 s37, 0, s37
	v_cmp_gt_u64_e64 s[2:3], s[36:37], 1
	s_mul_i32 s34, s26, s16
	s_mov_b64 s[38:39], -1
	s_and_b64 vcc, exec, s[2:3]
	s_mov_b64 s[2:3], s[8:9]
	s_cbranch_vccz .LBB46_12
; %bb.9:                                ;   in Loop: Header=BB46_4 Depth=1
	s_and_b32 s38, s36, -2
	s_add_u32 s67, s8, s10
	s_mov_b32 s39, s37
	s_addc_u32 s68, 0, 0
	s_lshl_b64 s[40:41], s[10:11], 1
	s_mov_b32 s69, s33
	s_mov_b32 s70, s44
	;; [unrolled: 1-line block ×6, first 2 shown]
	s_mov_b64 s[42:43], s[38:39]
.LBB46_10:                              ;   Parent Loop BB46_4 Depth=1
                                        ; =>  This Inner Loop Header: Depth=2
	s_mul_hi_u32 s2, s69, s45
	s_mul_hi_u32 s3, s67, s46
	s_mul_i32 s75, s67, s59
	s_mul_hi_u32 s76, s67, s58
	s_mul_i32 s78, s69, s57
	s_mul_hi_u32 s79, s69, s56
	s_add_i32 s3, s3, s67
	s_add_i32 s2, s2, s69
	s_mul_i32 s77, s68, s58
	s_add_i32 s75, s76, s75
	s_add_i32 s76, s79, s78
	s_lshr_b32 s78, s2, s47
	s_lshr_b32 s2, s3, s48
	s_mul_i32 s80, s70, s56
	s_add_i32 s75, s75, s77
	s_mul_i32 s3, s2, s49
	s_mul_i32 s77, s78, s14
	s_add_i32 s84, s76, s80
	s_mul_i32 s79, s51, s2
	s_mul_hi_u32 s80, s50, s2
	s_mul_i32 s81, s31, s78
	s_mul_hi_u32 s85, s30, s78
	s_mul_i32 s76, s30, s78
	s_sub_i32 s86, s69, s77
	s_sub_i32 s78, s67, s3
	s_add_i32 s3, s80, s79
	s_add_i32 s77, s85, s81
	s_mul_i32 s79, s55, s78
	s_mul_hi_u32 s81, s54, s78
	s_mul_i32 s85, s53, s86
	s_mul_hi_u32 s87, s52, s86
	s_mul_i32 s83, s69, s56
	s_add_i32 s79, s81, s79
	s_add_i32 s81, s87, s85
	s_mul_i32 s80, s52, s86
	s_add_u32 s86, s83, s26
	s_mul_i32 s82, s67, s58
	s_addc_u32 s83, s84, s27
	s_add_u32 s87, s82, s73
	s_mul_i32 s84, s86, s61
	s_mul_hi_u32 s85, s86, s60
	s_addc_u32 s75, s75, s74
	s_mul_i32 s82, s87, s63
	s_mul_hi_u32 s88, s87, s62
	s_mul_i32 s83, s83, s60
	s_add_i32 s84, s85, s84
	s_add_i32 s82, s88, s82
	s_mul_i32 s75, s75, s62
	s_lshl_b64 s[76:77], s[76:77], 2
	s_add_i32 s83, s84, s83
	s_add_i32 s85, s82, s75
	s_mul_i32 s2, s50, s2
	s_add_u32 s75, s24, s76
	s_addc_u32 s76, s25, s77
	s_lshl_b64 s[2:3], s[2:3], 2
	s_add_u32 s77, s24, s2
	s_addc_u32 s82, s25, s3
	s_lshl_b64 s[2:3], s[80:81], 2
	s_mul_i32 s78, s54, s78
	s_add_u32 s75, s75, s2
	s_addc_u32 s76, s76, s3
	s_lshl_b64 s[2:3], s[78:79], 2
	s_add_u32 s77, s77, s2
	s_addc_u32 s78, s82, s3
	s_lshl_b64 s[2:3], s[34:35], 2
	s_add_u32 s75, s75, s2
	s_addc_u32 s76, s76, s3
	s_add_u32 s2, s77, s2
	v_mov_b32_e32 v9, s76
	v_add_co_u32_e32 v8, vcc, s75, v2
	s_addc_u32 s3, s78, s3
	v_addc_co_u32_e32 v9, vcc, v9, v3, vcc
	global_load_dword v14, v[8:9], off
	v_mov_b32_e32 v9, s3
	v_add_co_u32_e32 v8, vcc, s2, v2
	v_addc_co_u32_e32 v9, vcc, v9, v3, vcc
	global_load_dword v15, v[8:9], off
	s_mul_i32 s82, s86, s60
	s_mul_i32 s84, s87, s62
	s_lshl_b64 s[2:3], s[82:83], 1
	s_lshl_b64 s[76:77], s[84:85], 1
	v_mov_b32_e32 v9, s3
	v_mov_b32_e32 v16, s77
	v_add_co_u32_e32 v8, vcc, s76, v0
	s_add_u32 s67, s67, s71
	v_add_co_u32_e64 v12, s[2:3], s2, v0
	v_addc_co_u32_e64 v13, s[2:3], v1, v9, s[2:3]
	v_addc_co_u32_e32 v9, vcc, v1, v16, vcc
	s_addc_u32 s68, s68, s72
	s_add_u32 s69, s69, s40
	s_addc_u32 s70, s70, s41
	s_add_u32 s42, s42, -2
	s_addc_u32 s43, s43, -1
	s_cmp_lg_u64 s[42:43], 0
	s_waitcnt vmcnt(1)
	v_and_b32_e32 v16, 0x7f800000, v14
	v_bfe_u32 v17, v14, 16, 1
	v_or_b32_e32 v18, 0x10000, v14
	v_cmp_eq_u32_sdwa vcc, v14, v11 src0_sel:WORD_0 src1_sel:DWORD
	v_add3_u32 v17, v14, v17, s66
	v_cndmask_b32_e32 v14, v18, v14, vcc
	v_cmp_eq_u32_e32 vcc, s65, v16
	s_waitcnt vmcnt(0)
	v_and_b32_e32 v16, 0x7f800000, v15
	v_bfe_u32 v18, v15, 16, 1
	v_or_b32_e32 v19, 0x10000, v15
	v_cndmask_b32_e32 v14, v17, v14, vcc
	v_cmp_eq_u32_sdwa vcc, v15, v11 src0_sel:WORD_0 src1_sel:DWORD
	v_add3_u32 v17, v15, v18, s66
	v_cndmask_b32_e32 v15, v19, v15, vcc
	v_cmp_eq_u32_e32 vcc, s65, v16
	global_store_short_d16_hi v[12:13], v14, off
	v_cndmask_b32_e32 v12, v17, v15, vcc
	global_store_short_d16_hi v[8:9], v12, off
	s_cbranch_scc1 .LBB46_10
; %bb.11:                               ;   in Loop: Header=BB46_4 Depth=1
	s_mul_i32 s2, s39, s10
	s_mul_hi_u32 s3, s38, s10
	s_add_i32 s3, s3, s2
	s_mul_i32 s2, s38, s10
	s_add_u32 s2, s2, s8
	s_addc_u32 s3, s3, 0
	s_cmp_lg_u64 s[36:37], s[38:39]
	s_cselect_b64 s[38:39], -1, 0
.LBB46_12:                              ;   in Loop: Header=BB46_4 Depth=1
	s_and_b64 vcc, exec, s[38:39]
	s_cbranch_vccz .LBB46_3
; %bb.13:                               ;   in Loop: Header=BB46_4 Depth=1
	s_mul_i32 s36, s22, s3
	s_mul_hi_u32 s37, s22, s2
	s_add_i32 s36, s37, s36
	s_mul_i32 s37, s23, s2
	s_add_i32 s36, s36, s37
	s_mul_i32 s37, s22, s2
	s_add_u32 s37, s26, s37
	s_addc_u32 s36, s27, s36
	s_mul_i32 s38, s5, s37
	s_mul_i32 s36, s4, s36
	v_mov_b32_e32 v8, s37
	s_add_i32 s38, s36, s38
	v_mad_u64_u32 v[8:9], s[36:37], s4, v8, v[0:1]
	s_mul_i32 s36, s21, s10
	s_mul_hi_u32 s37, s20, s10
	s_add_i32 s36, s37, s36
	v_add_u32_e32 v9, s38, v9
	s_mul_i32 s38, s20, s10
	v_mov_b32_e32 v12, s36
	s_branch .LBB46_15
.LBB46_14:                              ;   in Loop: Header=BB46_15 Depth=2
	s_or_b64 exec, exec, s[36:37]
	global_store_short_d16_hi v[8:9], v14, off
	s_add_u32 s2, s2, s10
	v_add_co_u32_e32 v8, vcc, s38, v8
	s_addc_u32 s3, s3, 0
	v_addc_co_u32_e32 v9, vcc, v9, v12, vcc
	v_cmp_ge_i64_e32 vcc, s[2:3], v[4:5]
	s_cbranch_vccnz .LBB46_3
.LBB46_15:                              ;   Parent Loop BB46_4 Depth=1
                                        ; =>  This Inner Loop Header: Depth=2
	s_mul_hi_u32 s36, s12, s2
	s_add_i32 s36, s2, s36
	s_lshr_b32 s36, s36, s13
	s_mul_i32 s37, s64, s36
	s_add_i32 s39, s2, s37
	s_mul_i32 s37, s36, s31
	s_mul_hi_u32 s40, s36, s30
	s_add_i32 s37, s40, s37
	s_mul_i32 s36, s36, s30
	s_mul_i32 s40, s39, s19
	s_mul_hi_u32 s41, s39, s18
	s_add_i32 s41, s41, s40
	s_lshl_b64 s[36:37], s[36:37], 2
	s_mul_i32 s40, s39, s18
	s_add_u32 s39, s24, s36
	s_addc_u32 s42, s25, s37
	s_lshl_b64 s[36:37], s[40:41], 2
	s_add_u32 s39, s39, s36
	s_addc_u32 s40, s42, s37
	s_lshl_b64 s[36:37], s[34:35], 2
	s_add_u32 s36, s39, s36
	s_addc_u32 s37, s40, s37
	v_mov_b32_e32 v13, s37
	v_add_co_u32_e32 v14, vcc, s36, v2
	v_addc_co_u32_e32 v15, vcc, v13, v3, vcc
	global_load_dword v13, v[14:15], off
	s_waitcnt vmcnt(0)
	v_and_b32_e32 v14, 0x7f800000, v13
	v_cmp_ne_u32_e32 vcc, s65, v14
                                        ; implicit-def: $vgpr14
	s_and_saveexec_b64 s[36:37], vcc
	s_xor_b64 s[36:37], exec, s[36:37]
; %bb.16:                               ;   in Loop: Header=BB46_15 Depth=2
	v_bfe_u32 v14, v13, 16, 1
	v_add3_u32 v14, v13, v14, s66
                                        ; implicit-def: $vgpr13
; %bb.17:                               ;   in Loop: Header=BB46_15 Depth=2
	s_andn2_saveexec_b64 s[36:37], s[36:37]
	s_cbranch_execz .LBB46_14
; %bb.18:                               ;   in Loop: Header=BB46_15 Depth=2
	v_or_b32_e32 v14, 0x10000, v13
	v_cmp_eq_u32_sdwa vcc, v13, v11 src0_sel:WORD_0 src1_sel:DWORD
	v_cndmask_b32_e32 v14, v14, v13, vcc
	s_branch .LBB46_14
.LBB46_19:                              ;   in Loop: Header=BB46_4 Depth=1
                                        ; implicit-def: $sgpr36_sgpr37
	s_branch .LBB46_7
.LBB46_20:
	s_endpgm
	.section	.rodata,"a",@progbits
	.p2align	6, 0x0
	.amdhsa_kernel _ZL13convert_unaryIf14__hip_bfloat16EvPKvPT0_lll15HIP_vector_typeIjLj3EElll
		.amdhsa_group_segment_fixed_size 0
		.amdhsa_private_segment_fixed_size 0
		.amdhsa_kernarg_size 336
		.amdhsa_user_sgpr_count 6
		.amdhsa_user_sgpr_private_segment_buffer 1
		.amdhsa_user_sgpr_dispatch_ptr 0
		.amdhsa_user_sgpr_queue_ptr 0
		.amdhsa_user_sgpr_kernarg_segment_ptr 1
		.amdhsa_user_sgpr_dispatch_id 0
		.amdhsa_user_sgpr_flat_scratch_init 0
		.amdhsa_user_sgpr_kernarg_preload_length 0
		.amdhsa_user_sgpr_kernarg_preload_offset 0
		.amdhsa_user_sgpr_private_segment_size 0
		.amdhsa_uses_dynamic_stack 0
		.amdhsa_system_sgpr_private_segment_wavefront_offset 0
		.amdhsa_system_sgpr_workgroup_id_x 1
		.amdhsa_system_sgpr_workgroup_id_y 1
		.amdhsa_system_sgpr_workgroup_id_z 1
		.amdhsa_system_sgpr_workgroup_info 0
		.amdhsa_system_vgpr_workitem_id 0
		.amdhsa_next_free_vgpr 20
		.amdhsa_next_free_sgpr 89
		.amdhsa_accum_offset 20
		.amdhsa_reserve_vcc 1
		.amdhsa_reserve_flat_scratch 0
		.amdhsa_float_round_mode_32 0
		.amdhsa_float_round_mode_16_64 0
		.amdhsa_float_denorm_mode_32 3
		.amdhsa_float_denorm_mode_16_64 3
		.amdhsa_dx10_clamp 1
		.amdhsa_ieee_mode 1
		.amdhsa_fp16_overflow 0
		.amdhsa_tg_split 0
		.amdhsa_exception_fp_ieee_invalid_op 0
		.amdhsa_exception_fp_denorm_src 0
		.amdhsa_exception_fp_ieee_div_zero 0
		.amdhsa_exception_fp_ieee_overflow 0
		.amdhsa_exception_fp_ieee_underflow 0
		.amdhsa_exception_fp_ieee_inexact 0
		.amdhsa_exception_int_div_zero 0
	.end_amdhsa_kernel
	.section	.text._ZL13convert_unaryIf14__hip_bfloat16EvPKvPT0_lll15HIP_vector_typeIjLj3EElll,"axG",@progbits,_ZL13convert_unaryIf14__hip_bfloat16EvPKvPT0_lll15HIP_vector_typeIjLj3EElll,comdat
.Lfunc_end46:
	.size	_ZL13convert_unaryIf14__hip_bfloat16EvPKvPT0_lll15HIP_vector_typeIjLj3EElll, .Lfunc_end46-_ZL13convert_unaryIf14__hip_bfloat16EvPKvPT0_lll15HIP_vector_typeIjLj3EElll
                                        ; -- End function
	.section	.AMDGPU.csdata,"",@progbits
; Kernel info:
; codeLenInByte = 1984
; NumSgprs: 93
; NumVgprs: 20
; NumAgprs: 0
; TotalNumVgprs: 20
; ScratchSize: 0
; MemoryBound: 0
; FloatMode: 240
; IeeeMode: 1
; LDSByteSize: 0 bytes/workgroup (compile time only)
; SGPRBlocks: 11
; VGPRBlocks: 2
; NumSGPRsForWavesPerEU: 93
; NumVGPRsForWavesPerEU: 20
; AccumOffset: 20
; Occupancy: 8
; WaveLimiterHint : 0
; COMPUTE_PGM_RSRC2:SCRATCH_EN: 0
; COMPUTE_PGM_RSRC2:USER_SGPR: 6
; COMPUTE_PGM_RSRC2:TRAP_HANDLER: 0
; COMPUTE_PGM_RSRC2:TGID_X_EN: 1
; COMPUTE_PGM_RSRC2:TGID_Y_EN: 1
; COMPUTE_PGM_RSRC2:TGID_Z_EN: 1
; COMPUTE_PGM_RSRC2:TIDIG_COMP_CNT: 0
; COMPUTE_PGM_RSRC3_GFX90A:ACCUM_OFFSET: 4
; COMPUTE_PGM_RSRC3_GFX90A:TG_SPLIT: 0
	.section	.text._ZL16dequantize_blockILi128ELi1EXadL_ZL15dequantize_q1_0PKvliR15HIP_vector_typeIfLj2EEEE14__hip_bfloat16EvS1_PT2_lllS2_IjLj3EElll,"axG",@progbits,_ZL16dequantize_blockILi128ELi1EXadL_ZL15dequantize_q1_0PKvliR15HIP_vector_typeIfLj2EEEE14__hip_bfloat16EvS1_PT2_lllS2_IjLj3EElll,comdat
	.globl	_ZL16dequantize_blockILi128ELi1EXadL_ZL15dequantize_q1_0PKvliR15HIP_vector_typeIfLj2EEEE14__hip_bfloat16EvS1_PT2_lllS2_IjLj3EElll ; -- Begin function _ZL16dequantize_blockILi128ELi1EXadL_ZL15dequantize_q1_0PKvliR15HIP_vector_typeIfLj2EEEE14__hip_bfloat16EvS1_PT2_lllS2_IjLj3EElll
	.p2align	8
	.type	_ZL16dequantize_blockILi128ELi1EXadL_ZL15dequantize_q1_0PKvliR15HIP_vector_typeIfLj2EEEE14__hip_bfloat16EvS1_PT2_lllS2_IjLj3EElll,@function
_ZL16dequantize_blockILi128ELi1EXadL_ZL15dequantize_q1_0PKvliR15HIP_vector_typeIfLj2EEEE14__hip_bfloat16EvS1_PT2_lllS2_IjLj3EElll: ; @_ZL16dequantize_blockILi128ELi1EXadL_ZL15dequantize_q1_0PKvliR15HIP_vector_typeIfLj2EEEE14__hip_bfloat16EvS1_PT2_lllS2_IjLj3EElll
; %bb.0:
	s_mov_b32 s10, s7
	s_load_dword s7, s[4:5], 0x5c
	s_load_dwordx4 s[0:3], s[4:5], 0x10
	s_add_u32 s24, s4, 0x50
	s_addc_u32 s25, s5, 0
	v_mov_b32_e32 v1, 0
	s_waitcnt lgkmcnt(0)
	s_and_b32 s9, s7, 0xffff
	v_mov_b32_e32 v2, s6
	v_mad_u64_u32 v[2:3], s[12:13], s9, v2, v[0:1]
	v_lshlrev_b64 v[6:7], 1, v[2:3]
	v_cmp_gt_i64_e32 vcc, s[0:1], v[6:7]
	s_and_saveexec_b64 s[12:13], vcc
	s_cbranch_execz .LBB47_15
; %bb.1:
	s_load_dwordx2 s[28:29], s[4:5], 0x20
	s_mov_b32 s11, 0
	v_pk_mov_b32 v[4:5], s[2:3], s[2:3] op_sel:[0,1]
	v_cmp_ge_i64_e32 vcc, s[10:11], v[4:5]
	s_cbranch_vccnz .LBB47_15
; %bb.2:
	s_load_dwordx4 s[20:23], s[4:5], 0x0
	s_load_dwordx8 s[12:19], s[4:5], 0x28
	s_load_dwordx2 s[26:27], s[4:5], 0x48
	s_mul_i32 s4, s3, s8
	s_mul_hi_u32 s5, s2, s8
	s_add_i32 s5, s5, s4
	s_mul_i32 s4, s2, s8
	s_add_u32 s4, s4, s10
	s_addc_u32 s5, s5, 0
	s_mul_i32 s5, s0, s5
	s_waitcnt lgkmcnt(0)
	s_mul_hi_u32 s15, s0, s4
	s_add_i32 s5, s15, s5
	s_mul_i32 s15, s1, s4
	v_lshrrev_b64 v[2:3], 6, v[2:3]
	s_add_i32 s5, s5, s15
	s_mul_i32 s4, s0, s4
	v_bfe_u32 v4, v6, 3, 4
	v_and_b32_e32 v12, 6, v6
	s_lshl_b64 s[4:5], s[4:5], 1
	v_lshlrev_b64 v[6:7], 8, v[2:3]
	v_mov_b32_e32 v1, s5
	v_add_co_u32_e32 v6, vcc, s4, v6
	v_addc_co_u32_e32 v1, vcc, v1, v7, vcc
	v_mov_b32_e32 v7, s7
	s_load_dword s30, s[24:25], 0x4
	v_mad_legacy_u16 v0, s6, v7, v0
	v_and_b32_e32 v0, 63, v0
	v_lshlrev_b32_e32 v0, 2, v0
	v_add_co_u32_e32 v0, vcc, v6, v0
	v_addc_co_u32_e32 v1, vcc, 0, v1, vcc
	v_mov_b32_e32 v6, s23
	v_add_co_u32_e32 v0, vcc, s22, v0
	s_waitcnt lgkmcnt(0)
	s_mul_i32 s4, s1, s30
	s_mul_hi_u32 s5, s0, s30
	s_mul_i32 s1, s2, s1
	s_mul_hi_u32 s6, s2, s0
	v_addc_co_u32_e32 v1, vcc, v1, v6, vcc
	s_add_i32 s5, s5, s4
	s_mul_i32 s4, s0, s30
	s_add_i32 s1, s6, s1
	s_mul_i32 s6, s3, s0
	s_mov_b32 s9, s11
	v_pk_mov_b32 v[8:9], s[28:29], s[28:29] op_sel:[0,1]
	v_add_co_u32_e32 v0, vcc, 2, v0
	s_lshl_b64 s[4:5], s[4:5], 1
	s_add_i32 s1, s1, s6
	s_mul_i32 s0, s2, s0
	v_mov_b32_e32 v5, 0
	v_or_b32_e32 v13, 1, v12
	v_addc_co_u32_e32 v1, vcc, 0, v1, vcc
	s_lshl_b64 s[6:7], s[0:1], 1
	s_sub_i32 s22, 0, s14
	v_cmp_lt_i64_e64 s[0:1], s[8:9], v[8:9]
	s_mov_b32 s23, 0x7f800000
	s_movk_i32 s31, 0x7fff
	v_pk_mov_b32 v[6:7], s[28:29], s[28:29] op_sel:[0,1]
	v_mov_b32_e32 v14, s5
	v_pk_mov_b32 v[8:9], s[2:3], s[2:3] op_sel:[0,1]
	s_branch .LBB47_4
.LBB47_3:                               ;   in Loop: Header=BB47_4 Depth=1
	s_add_u32 s10, s10, s30
	v_add_co_u32_e32 v0, vcc, s4, v0
	s_addc_u32 s11, s11, 0
	v_addc_co_u32_e32 v1, vcc, v1, v14, vcc
	v_cmp_ge_i64_e32 vcc, s[10:11], v[8:9]
	s_cbranch_vccnz .LBB47_15
.LBB47_4:                               ; =>This Loop Header: Depth=1
                                        ;     Child Loop BB47_7 Depth 2
	s_andn2_b64 vcc, exec, s[0:1]
	s_cbranch_vccnz .LBB47_3
; %bb.5:                                ;   in Loop: Header=BB47_4 Depth=1
	s_load_dword s5, s[24:25], 0x8
	s_mul_i32 s2, s10, s17
	s_mul_hi_u32 s3, s10, s16
	s_add_i32 s2, s3, s2
	s_mul_i32 s3, s11, s16
	s_add_i32 s28, s2, s3
	s_waitcnt lgkmcnt(0)
	s_mul_i32 s2, s7, s5
	s_mul_hi_u32 s3, s6, s5
	s_add_i32 s2, s3, s2
	s_mul_i32 s29, s10, s16
	s_mul_i32 s33, s6, s5
	v_mov_b32_e32 v15, s2
	v_pk_mov_b32 v[10:11], v[0:1], v[0:1] op_sel:[0,1]
	s_mov_b64 s[2:3], s[8:9]
	s_branch .LBB47_7
.LBB47_6:                               ;   in Loop: Header=BB47_7 Depth=2
	s_or_b64 exec, exec, s[14:15]
	global_store_short_d16_hi v[10:11], v17, off
	s_add_u32 s2, s2, s5
	v_add_co_u32_e32 v10, vcc, s33, v10
	s_addc_u32 s3, s3, 0
	v_addc_co_u32_e32 v11, vcc, v11, v15, vcc
	v_cmp_ge_i64_e32 vcc, s[2:3], v[6:7]
	s_cbranch_vccnz .LBB47_3
.LBB47_7:                               ;   Parent Loop BB47_4 Depth=1
                                        ; =>  This Inner Loop Header: Depth=2
	s_mul_hi_u32 s14, s12, s2
	s_add_i32 s14, s2, s14
	s_lshr_b32 s14, s14, s13
	s_mul_i32 s15, s22, s14
	s_add_i32 s15, s2, s15
	s_mul_i32 s34, s14, s27
	s_mul_hi_u32 s35, s14, s26
	s_add_i32 s34, s35, s34
	s_mul_i32 s14, s14, s26
	s_mul_i32 s35, s15, s19
	s_mul_hi_u32 s36, s15, s18
	s_add_i32 s35, s36, s35
	s_mul_i32 s34, s34, 18
	s_mul_hi_u32 s36, s14, 18
	s_add_i32 s36, s36, s34
	s_mul_i32 s14, s14, 18
	s_mul_i32 s15, s15, s18
	s_add_u32 s14, s20, s14
	s_addc_u32 s34, s21, s36
	s_mul_i32 s35, s35, 18
	s_mul_hi_u32 s36, s15, 18
	s_add_i32 s36, s36, s35
	s_mul_i32 s15, s15, 18
	s_add_u32 s14, s14, s15
	s_addc_u32 s15, s34, s36
	s_mul_i32 s34, s28, 18
	s_mul_hi_u32 s35, s29, 18
	s_add_i32 s35, s35, s34
	s_mul_i32 s34, s29, 18
	s_add_u32 s14, s14, s34
	s_addc_u32 s15, s15, s35
	v_mad_u64_u32 v[18:19], s[14:15], v2, 18, s[14:15]
	v_mov_b32_e32 v16, v19
	v_mad_u64_u32 v[16:17], s[14:15], v3, 18, v[16:17]
	v_mov_b32_e32 v19, v16
	v_add_co_u32_e32 v20, vcc, v18, v4
	v_addc_co_u32_e32 v21, vcc, 0, v19, vcc
	global_load_ushort v16, v[18:19], off
	global_load_ubyte v17, v[20:21], off offset:2
	s_waitcnt vmcnt(1)
	v_cvt_f32_f16_e32 v16, v16
	s_waitcnt vmcnt(0)
	v_lshrrev_b32_e32 v18, v12, v17
	v_lshlrev_b32_e32 v18, 1, v18
	v_and_b32_e32 v18, 2, v18
	v_add_u32_e32 v18, -1, v18
	v_cvt_f32_i32_e32 v18, v18
	v_mul_f32_e32 v19, v16, v18
	v_and_b32_e32 v18, 0x7f800000, v19
	v_cmp_ne_u32_e32 vcc, s23, v18
                                        ; implicit-def: $vgpr18
	s_and_saveexec_b64 s[14:15], vcc
	s_xor_b64 s[14:15], exec, s[14:15]
; %bb.8:                                ;   in Loop: Header=BB47_7 Depth=2
	v_bfe_u32 v18, v19, 16, 1
	v_add3_u32 v18, v19, v18, s31
                                        ; implicit-def: $vgpr19
; %bb.9:                                ;   in Loop: Header=BB47_7 Depth=2
	s_andn2_saveexec_b64 s[14:15], s[14:15]
; %bb.10:                               ;   in Loop: Header=BB47_7 Depth=2
	v_or_b32_e32 v18, 0x10000, v19
	v_cmp_eq_u32_sdwa vcc, v19, v5 src0_sel:WORD_0 src1_sel:DWORD
	v_cndmask_b32_e32 v18, v18, v19, vcc
; %bb.11:                               ;   in Loop: Header=BB47_7 Depth=2
	s_or_b64 exec, exec, s[14:15]
	v_lshrrev_b32_e32 v17, v13, v17
	v_lshlrev_b32_e32 v17, 1, v17
	v_and_b32_e32 v17, 2, v17
	v_add_u32_e32 v17, -1, v17
	v_cvt_f32_i32_e32 v17, v17
	global_store_short_d16_hi v[10:11], v18, off offset:-2
	v_mul_f32_e32 v16, v16, v17
	v_and_b32_e32 v17, 0x7f800000, v16
	v_cmp_ne_u32_e32 vcc, s23, v17
                                        ; implicit-def: $vgpr17
	s_and_saveexec_b64 s[14:15], vcc
	s_xor_b64 s[14:15], exec, s[14:15]
; %bb.12:                               ;   in Loop: Header=BB47_7 Depth=2
	v_bfe_u32 v17, v16, 16, 1
	v_add3_u32 v17, v16, v17, s31
                                        ; implicit-def: $vgpr16
; %bb.13:                               ;   in Loop: Header=BB47_7 Depth=2
	s_andn2_saveexec_b64 s[14:15], s[14:15]
	s_cbranch_execz .LBB47_6
; %bb.14:                               ;   in Loop: Header=BB47_7 Depth=2
	v_or_b32_e32 v17, 0x10000, v16
	v_cmp_eq_u32_sdwa vcc, v16, v5 src0_sel:WORD_0 src1_sel:DWORD
	v_cndmask_b32_e32 v17, v17, v16, vcc
	s_branch .LBB47_6
.LBB47_15:
	s_endpgm
	.section	.rodata,"a",@progbits
	.p2align	6, 0x0
	.amdhsa_kernel _ZL16dequantize_blockILi128ELi1EXadL_ZL15dequantize_q1_0PKvliR15HIP_vector_typeIfLj2EEEE14__hip_bfloat16EvS1_PT2_lllS2_IjLj3EElll
		.amdhsa_group_segment_fixed_size 0
		.amdhsa_private_segment_fixed_size 0
		.amdhsa_kernarg_size 336
		.amdhsa_user_sgpr_count 6
		.amdhsa_user_sgpr_private_segment_buffer 1
		.amdhsa_user_sgpr_dispatch_ptr 0
		.amdhsa_user_sgpr_queue_ptr 0
		.amdhsa_user_sgpr_kernarg_segment_ptr 1
		.amdhsa_user_sgpr_dispatch_id 0
		.amdhsa_user_sgpr_flat_scratch_init 0
		.amdhsa_user_sgpr_kernarg_preload_length 0
		.amdhsa_user_sgpr_kernarg_preload_offset 0
		.amdhsa_user_sgpr_private_segment_size 0
		.amdhsa_uses_dynamic_stack 0
		.amdhsa_system_sgpr_private_segment_wavefront_offset 0
		.amdhsa_system_sgpr_workgroup_id_x 1
		.amdhsa_system_sgpr_workgroup_id_y 1
		.amdhsa_system_sgpr_workgroup_id_z 1
		.amdhsa_system_sgpr_workgroup_info 0
		.amdhsa_system_vgpr_workitem_id 0
		.amdhsa_next_free_vgpr 22
		.amdhsa_next_free_sgpr 37
		.amdhsa_accum_offset 24
		.amdhsa_reserve_vcc 1
		.amdhsa_reserve_flat_scratch 0
		.amdhsa_float_round_mode_32 0
		.amdhsa_float_round_mode_16_64 0
		.amdhsa_float_denorm_mode_32 3
		.amdhsa_float_denorm_mode_16_64 3
		.amdhsa_dx10_clamp 1
		.amdhsa_ieee_mode 1
		.amdhsa_fp16_overflow 0
		.amdhsa_tg_split 0
		.amdhsa_exception_fp_ieee_invalid_op 0
		.amdhsa_exception_fp_denorm_src 0
		.amdhsa_exception_fp_ieee_div_zero 0
		.amdhsa_exception_fp_ieee_overflow 0
		.amdhsa_exception_fp_ieee_underflow 0
		.amdhsa_exception_fp_ieee_inexact 0
		.amdhsa_exception_int_div_zero 0
	.end_amdhsa_kernel
	.section	.text._ZL16dequantize_blockILi128ELi1EXadL_ZL15dequantize_q1_0PKvliR15HIP_vector_typeIfLj2EEEE14__hip_bfloat16EvS1_PT2_lllS2_IjLj3EElll,"axG",@progbits,_ZL16dequantize_blockILi128ELi1EXadL_ZL15dequantize_q1_0PKvliR15HIP_vector_typeIfLj2EEEE14__hip_bfloat16EvS1_PT2_lllS2_IjLj3EElll,comdat
.Lfunc_end47:
	.size	_ZL16dequantize_blockILi128ELi1EXadL_ZL15dequantize_q1_0PKvliR15HIP_vector_typeIfLj2EEEE14__hip_bfloat16EvS1_PT2_lllS2_IjLj3EElll, .Lfunc_end47-_ZL16dequantize_blockILi128ELi1EXadL_ZL15dequantize_q1_0PKvliR15HIP_vector_typeIfLj2EEEE14__hip_bfloat16EvS1_PT2_lllS2_IjLj3EElll
                                        ; -- End function
	.section	.AMDGPU.csdata,"",@progbits
; Kernel info:
; codeLenInByte = 920
; NumSgprs: 41
; NumVgprs: 22
; NumAgprs: 0
; TotalNumVgprs: 22
; ScratchSize: 0
; MemoryBound: 0
; FloatMode: 240
; IeeeMode: 1
; LDSByteSize: 0 bytes/workgroup (compile time only)
; SGPRBlocks: 5
; VGPRBlocks: 2
; NumSGPRsForWavesPerEU: 41
; NumVGPRsForWavesPerEU: 22
; AccumOffset: 24
; Occupancy: 8
; WaveLimiterHint : 0
; COMPUTE_PGM_RSRC2:SCRATCH_EN: 0
; COMPUTE_PGM_RSRC2:USER_SGPR: 6
; COMPUTE_PGM_RSRC2:TRAP_HANDLER: 0
; COMPUTE_PGM_RSRC2:TGID_X_EN: 1
; COMPUTE_PGM_RSRC2:TGID_Y_EN: 1
; COMPUTE_PGM_RSRC2:TGID_Z_EN: 1
; COMPUTE_PGM_RSRC2:TIDIG_COMP_CNT: 0
; COMPUTE_PGM_RSRC3_GFX90A:ACCUM_OFFSET: 5
; COMPUTE_PGM_RSRC3_GFX90A:TG_SPLIT: 0
	.section	.text._ZL16dequantize_blockILi32ELi2EXadL_ZL15dequantize_q4_0PKvliR15HIP_vector_typeIfLj2EEEE14__hip_bfloat16EvS1_PT2_lllS2_IjLj3EElll,"axG",@progbits,_ZL16dequantize_blockILi32ELi2EXadL_ZL15dequantize_q4_0PKvliR15HIP_vector_typeIfLj2EEEE14__hip_bfloat16EvS1_PT2_lllS2_IjLj3EElll,comdat
	.globl	_ZL16dequantize_blockILi32ELi2EXadL_ZL15dequantize_q4_0PKvliR15HIP_vector_typeIfLj2EEEE14__hip_bfloat16EvS1_PT2_lllS2_IjLj3EElll ; -- Begin function _ZL16dequantize_blockILi32ELi2EXadL_ZL15dequantize_q4_0PKvliR15HIP_vector_typeIfLj2EEEE14__hip_bfloat16EvS1_PT2_lllS2_IjLj3EElll
	.p2align	8
	.type	_ZL16dequantize_blockILi32ELi2EXadL_ZL15dequantize_q4_0PKvliR15HIP_vector_typeIfLj2EEEE14__hip_bfloat16EvS1_PT2_lllS2_IjLj3EElll,@function
_ZL16dequantize_blockILi32ELi2EXadL_ZL15dequantize_q4_0PKvliR15HIP_vector_typeIfLj2EEEE14__hip_bfloat16EvS1_PT2_lllS2_IjLj3EElll: ; @_ZL16dequantize_blockILi32ELi2EXadL_ZL15dequantize_q4_0PKvliR15HIP_vector_typeIfLj2EEEE14__hip_bfloat16EvS1_PT2_lllS2_IjLj3EElll
; %bb.0:
	s_mov_b32 s10, s7
	s_load_dword s7, s[4:5], 0x5c
	s_load_dwordx4 s[0:3], s[4:5], 0x10
	s_add_u32 s24, s4, 0x50
	s_addc_u32 s25, s5, 0
	v_mov_b32_e32 v1, 0
	s_waitcnt lgkmcnt(0)
	s_and_b32 s7, s7, 0xffff
	v_mov_b32_e32 v2, s6
	v_mad_u64_u32 v[2:3], s[6:7], s7, v2, v[0:1]
	v_lshlrev_b64 v[0:1], 1, v[2:3]
	v_cmp_gt_i64_e32 vcc, s[0:1], v[0:1]
	s_and_saveexec_b64 s[6:7], vcc
	s_cbranch_execz .LBB48_15
; %bb.1:
	s_load_dwordx2 s[26:27], s[4:5], 0x20
	s_mov_b32 s11, 0
	v_pk_mov_b32 v[0:1], s[2:3], s[2:3] op_sel:[0,1]
	v_cmp_ge_i64_e32 vcc, s[10:11], v[0:1]
	s_cbranch_vccnz .LBB48_15
; %bb.2:
	s_load_dwordx4 s[20:23], s[4:5], 0x0
	s_load_dwordx8 s[12:19], s[4:5], 0x28
	s_load_dwordx2 s[6:7], s[4:5], 0x48
	s_mul_i32 s4, s3, s8
	s_mul_hi_u32 s5, s2, s8
	s_add_i32 s5, s5, s4
	s_mul_i32 s4, s2, s8
	s_add_u32 s4, s4, s10
	s_addc_u32 s5, s5, 0
	s_mul_i32 s5, s0, s5
	s_waitcnt lgkmcnt(0)
	s_mul_hi_u32 s15, s0, s4
	s_add_i32 s5, s15, s5
	s_mul_i32 s15, s1, s4
	v_lshrrev_b64 v[0:1], 4, v[2:3]
	s_add_i32 s5, s5, s15
	s_mul_i32 s4, s0, s4
	s_load_dword s28, s[24:25], 0x4
	s_lshl_b64 s[4:5], s[4:5], 1
	v_lshlrev_b64 v[4:5], 6, v[0:1]
	v_and_b32_e32 v2, 15, v2
	v_mov_b32_e32 v8, s5
	v_add_co_u32_e32 v4, vcc, s4, v4
	v_addc_co_u32_e32 v5, vcc, v8, v5, vcc
	v_lshlrev_b32_e32 v8, 1, v2
	v_add_co_u32_e32 v4, vcc, v4, v8
	v_addc_co_u32_e32 v5, vcc, 0, v5, vcc
	v_mov_b32_e32 v8, s23
	v_add_co_u32_e32 v4, vcc, s22, v4
	s_waitcnt lgkmcnt(0)
	s_mul_i32 s4, s1, s28
	s_mul_hi_u32 s5, s0, s28
	s_mul_i32 s1, s2, s1
	s_mul_hi_u32 s15, s2, s0
	v_addc_co_u32_e32 v5, vcc, v5, v8, vcc
	s_add_i32 s5, s5, s4
	s_mul_i32 s4, s0, s28
	s_add_i32 s1, s15, s1
	s_mul_i32 s15, s3, s0
	s_mov_b32 s9, s11
	v_pk_mov_b32 v[6:7], s[26:27], s[26:27] op_sel:[0,1]
	v_add_co_u32_e32 v4, vcc, 32, v4
	s_lshl_b64 s[4:5], s[4:5], 1
	s_add_i32 s1, s1, s15
	s_mul_i32 s0, s2, s0
	v_mov_b32_e32 v3, 0
	v_addc_co_u32_e32 v5, vcc, 0, v5, vcc
	s_lshl_b64 s[22:23], s[0:1], 1
	s_sub_i32 s29, 0, s14
	v_cmp_lt_i64_e64 s[0:1], s[8:9], v[6:7]
	s_mov_b32 s30, 0x7f800000
	s_movk_i32 s31, 0x7fff
	v_mov_b32_e32 v12, s5
	v_pk_mov_b32 v[8:9], s[2:3], s[2:3] op_sel:[0,1]
	s_branch .LBB48_4
.LBB48_3:                               ;   in Loop: Header=BB48_4 Depth=1
	s_add_u32 s10, s10, s28
	v_add_co_u32_e32 v4, vcc, s4, v4
	s_addc_u32 s11, s11, 0
	v_addc_co_u32_e32 v5, vcc, v5, v12, vcc
	v_cmp_ge_i64_e32 vcc, s[10:11], v[8:9]
	s_cbranch_vccnz .LBB48_15
.LBB48_4:                               ; =>This Loop Header: Depth=1
                                        ;     Child Loop BB48_7 Depth 2
	s_andn2_b64 vcc, exec, s[0:1]
	s_cbranch_vccnz .LBB48_3
; %bb.5:                                ;   in Loop: Header=BB48_4 Depth=1
	s_load_dword s5, s[24:25], 0x8
	s_mul_i32 s2, s10, s17
	s_mul_hi_u32 s3, s10, s16
	s_add_i32 s2, s3, s2
	s_mul_i32 s3, s11, s16
	s_add_i32 s26, s2, s3
	s_waitcnt lgkmcnt(0)
	s_mul_i32 s2, s23, s5
	s_mul_hi_u32 s3, s22, s5
	s_add_i32 s2, s3, s2
	s_mul_i32 s27, s10, s16
	s_mul_i32 s33, s22, s5
	v_mov_b32_e32 v13, s2
	v_pk_mov_b32 v[10:11], v[4:5], v[4:5] op_sel:[0,1]
	s_mov_b64 s[2:3], s[8:9]
	s_branch .LBB48_7
.LBB48_6:                               ;   in Loop: Header=BB48_7 Depth=2
	s_or_b64 exec, exec, s[14:15]
	global_store_short_d16_hi v[10:11], v15, off
	s_add_u32 s2, s2, s5
	v_add_co_u32_e32 v10, vcc, s33, v10
	s_addc_u32 s3, s3, 0
	v_addc_co_u32_e32 v11, vcc, v11, v13, vcc
	v_cmp_ge_i64_e32 vcc, s[2:3], v[6:7]
	s_cbranch_vccnz .LBB48_3
.LBB48_7:                               ;   Parent Loop BB48_4 Depth=1
                                        ; =>  This Inner Loop Header: Depth=2
	s_mul_hi_u32 s14, s12, s2
	s_add_i32 s14, s2, s14
	s_lshr_b32 s14, s14, s13
	s_mul_i32 s15, s29, s14
	s_add_i32 s15, s2, s15
	s_mul_i32 s34, s14, s7
	s_mul_hi_u32 s35, s14, s6
	s_add_i32 s34, s35, s34
	s_mul_i32 s14, s14, s6
	s_mul_i32 s35, s15, s19
	s_mul_hi_u32 s36, s15, s18
	s_add_i32 s35, s36, s35
	s_mul_i32 s34, s34, 18
	s_mul_hi_u32 s36, s14, 18
	s_add_i32 s36, s36, s34
	s_mul_i32 s14, s14, 18
	s_mul_i32 s15, s15, s18
	s_add_u32 s14, s20, s14
	s_addc_u32 s34, s21, s36
	s_mul_i32 s35, s35, 18
	s_mul_hi_u32 s36, s15, 18
	s_add_i32 s36, s36, s35
	s_mul_i32 s15, s15, 18
	s_add_u32 s14, s14, s15
	s_addc_u32 s15, s34, s36
	s_mul_i32 s34, s26, 18
	s_mul_hi_u32 s35, s27, 18
	s_add_i32 s35, s35, s34
	s_mul_i32 s34, s27, 18
	s_add_u32 s14, s14, s34
	s_addc_u32 s15, s15, s35
	v_mad_u64_u32 v[16:17], s[14:15], v0, 18, s[14:15]
	v_mov_b32_e32 v14, v17
	v_mad_u64_u32 v[14:15], s[14:15], v1, 18, v[14:15]
	v_mov_b32_e32 v17, v14
	v_add_co_u32_e32 v18, vcc, v16, v2
	v_addc_co_u32_e32 v19, vcc, 0, v17, vcc
	global_load_ushort v14, v[16:17], off
	global_load_ubyte v15, v[18:19], off offset:2
	s_waitcnt vmcnt(1)
	v_cvt_f32_f16_e32 v14, v14
	s_waitcnt vmcnt(0)
	v_and_b32_e32 v16, 15, v15
	v_add_u32_e32 v16, -8, v16
	v_cvt_f32_i32_e32 v16, v16
	v_mul_f32_e32 v17, v14, v16
	v_and_b32_e32 v16, 0x7f800000, v17
	v_cmp_ne_u32_e32 vcc, s30, v16
                                        ; implicit-def: $vgpr16
	s_and_saveexec_b64 s[14:15], vcc
	s_xor_b64 s[14:15], exec, s[14:15]
; %bb.8:                                ;   in Loop: Header=BB48_7 Depth=2
	v_bfe_u32 v16, v17, 16, 1
	v_add3_u32 v16, v17, v16, s31
                                        ; implicit-def: $vgpr17
; %bb.9:                                ;   in Loop: Header=BB48_7 Depth=2
	s_andn2_saveexec_b64 s[14:15], s[14:15]
; %bb.10:                               ;   in Loop: Header=BB48_7 Depth=2
	v_or_b32_e32 v16, 0x10000, v17
	v_cmp_eq_u32_sdwa vcc, v17, v3 src0_sel:WORD_0 src1_sel:DWORD
	v_cndmask_b32_e32 v16, v16, v17, vcc
; %bb.11:                               ;   in Loop: Header=BB48_7 Depth=2
	s_or_b64 exec, exec, s[14:15]
	v_lshrrev_b32_e32 v15, 4, v15
	v_add_u32_e32 v15, -8, v15
	v_cvt_f32_i32_e32 v15, v15
	global_store_short_d16_hi v[10:11], v16, off offset:-32
	v_mul_f32_e32 v14, v14, v15
	v_and_b32_e32 v15, 0x7f800000, v14
	v_cmp_ne_u32_e32 vcc, s30, v15
                                        ; implicit-def: $vgpr15
	s_and_saveexec_b64 s[14:15], vcc
	s_xor_b64 s[14:15], exec, s[14:15]
; %bb.12:                               ;   in Loop: Header=BB48_7 Depth=2
	v_bfe_u32 v15, v14, 16, 1
	v_add3_u32 v15, v14, v15, s31
                                        ; implicit-def: $vgpr14
; %bb.13:                               ;   in Loop: Header=BB48_7 Depth=2
	s_andn2_saveexec_b64 s[14:15], s[14:15]
	s_cbranch_execz .LBB48_6
; %bb.14:                               ;   in Loop: Header=BB48_7 Depth=2
	v_or_b32_e32 v15, 0x10000, v14
	v_cmp_eq_u32_sdwa vcc, v14, v3 src0_sel:WORD_0 src1_sel:DWORD
	v_cndmask_b32_e32 v15, v15, v14, vcc
	s_branch .LBB48_6
.LBB48_15:
	s_endpgm
	.section	.rodata,"a",@progbits
	.p2align	6, 0x0
	.amdhsa_kernel _ZL16dequantize_blockILi32ELi2EXadL_ZL15dequantize_q4_0PKvliR15HIP_vector_typeIfLj2EEEE14__hip_bfloat16EvS1_PT2_lllS2_IjLj3EElll
		.amdhsa_group_segment_fixed_size 0
		.amdhsa_private_segment_fixed_size 0
		.amdhsa_kernarg_size 336
		.amdhsa_user_sgpr_count 6
		.amdhsa_user_sgpr_private_segment_buffer 1
		.amdhsa_user_sgpr_dispatch_ptr 0
		.amdhsa_user_sgpr_queue_ptr 0
		.amdhsa_user_sgpr_kernarg_segment_ptr 1
		.amdhsa_user_sgpr_dispatch_id 0
		.amdhsa_user_sgpr_flat_scratch_init 0
		.amdhsa_user_sgpr_kernarg_preload_length 0
		.amdhsa_user_sgpr_kernarg_preload_offset 0
		.amdhsa_user_sgpr_private_segment_size 0
		.amdhsa_uses_dynamic_stack 0
		.amdhsa_system_sgpr_private_segment_wavefront_offset 0
		.amdhsa_system_sgpr_workgroup_id_x 1
		.amdhsa_system_sgpr_workgroup_id_y 1
		.amdhsa_system_sgpr_workgroup_id_z 1
		.amdhsa_system_sgpr_workgroup_info 0
		.amdhsa_system_vgpr_workitem_id 0
		.amdhsa_next_free_vgpr 20
		.amdhsa_next_free_sgpr 37
		.amdhsa_accum_offset 20
		.amdhsa_reserve_vcc 1
		.amdhsa_reserve_flat_scratch 0
		.amdhsa_float_round_mode_32 0
		.amdhsa_float_round_mode_16_64 0
		.amdhsa_float_denorm_mode_32 3
		.amdhsa_float_denorm_mode_16_64 3
		.amdhsa_dx10_clamp 1
		.amdhsa_ieee_mode 1
		.amdhsa_fp16_overflow 0
		.amdhsa_tg_split 0
		.amdhsa_exception_fp_ieee_invalid_op 0
		.amdhsa_exception_fp_denorm_src 0
		.amdhsa_exception_fp_ieee_div_zero 0
		.amdhsa_exception_fp_ieee_overflow 0
		.amdhsa_exception_fp_ieee_underflow 0
		.amdhsa_exception_fp_ieee_inexact 0
		.amdhsa_exception_int_div_zero 0
	.end_amdhsa_kernel
	.section	.text._ZL16dequantize_blockILi32ELi2EXadL_ZL15dequantize_q4_0PKvliR15HIP_vector_typeIfLj2EEEE14__hip_bfloat16EvS1_PT2_lllS2_IjLj3EElll,"axG",@progbits,_ZL16dequantize_blockILi32ELi2EXadL_ZL15dequantize_q4_0PKvliR15HIP_vector_typeIfLj2EEEE14__hip_bfloat16EvS1_PT2_lllS2_IjLj3EElll,comdat
.Lfunc_end48:
	.size	_ZL16dequantize_blockILi32ELi2EXadL_ZL15dequantize_q4_0PKvliR15HIP_vector_typeIfLj2EEEE14__hip_bfloat16EvS1_PT2_lllS2_IjLj3EElll, .Lfunc_end48-_ZL16dequantize_blockILi32ELi2EXadL_ZL15dequantize_q4_0PKvliR15HIP_vector_typeIfLj2EEEE14__hip_bfloat16EvS1_PT2_lllS2_IjLj3EElll
                                        ; -- End function
	.section	.AMDGPU.csdata,"",@progbits
; Kernel info:
; codeLenInByte = 868
; NumSgprs: 41
; NumVgprs: 20
; NumAgprs: 0
; TotalNumVgprs: 20
; ScratchSize: 0
; MemoryBound: 0
; FloatMode: 240
; IeeeMode: 1
; LDSByteSize: 0 bytes/workgroup (compile time only)
; SGPRBlocks: 5
; VGPRBlocks: 2
; NumSGPRsForWavesPerEU: 41
; NumVGPRsForWavesPerEU: 20
; AccumOffset: 20
; Occupancy: 8
; WaveLimiterHint : 0
; COMPUTE_PGM_RSRC2:SCRATCH_EN: 0
; COMPUTE_PGM_RSRC2:USER_SGPR: 6
; COMPUTE_PGM_RSRC2:TRAP_HANDLER: 0
; COMPUTE_PGM_RSRC2:TGID_X_EN: 1
; COMPUTE_PGM_RSRC2:TGID_Y_EN: 1
; COMPUTE_PGM_RSRC2:TGID_Z_EN: 1
; COMPUTE_PGM_RSRC2:TIDIG_COMP_CNT: 0
; COMPUTE_PGM_RSRC3_GFX90A:ACCUM_OFFSET: 4
; COMPUTE_PGM_RSRC3_GFX90A:TG_SPLIT: 0
	.section	.text._ZL16dequantize_blockILi32ELi2EXadL_ZL15dequantize_q4_1PKvliR15HIP_vector_typeIfLj2EEEE14__hip_bfloat16EvS1_PT2_lllS2_IjLj3EElll,"axG",@progbits,_ZL16dequantize_blockILi32ELi2EXadL_ZL15dequantize_q4_1PKvliR15HIP_vector_typeIfLj2EEEE14__hip_bfloat16EvS1_PT2_lllS2_IjLj3EElll,comdat
	.globl	_ZL16dequantize_blockILi32ELi2EXadL_ZL15dequantize_q4_1PKvliR15HIP_vector_typeIfLj2EEEE14__hip_bfloat16EvS1_PT2_lllS2_IjLj3EElll ; -- Begin function _ZL16dequantize_blockILi32ELi2EXadL_ZL15dequantize_q4_1PKvliR15HIP_vector_typeIfLj2EEEE14__hip_bfloat16EvS1_PT2_lllS2_IjLj3EElll
	.p2align	8
	.type	_ZL16dequantize_blockILi32ELi2EXadL_ZL15dequantize_q4_1PKvliR15HIP_vector_typeIfLj2EEEE14__hip_bfloat16EvS1_PT2_lllS2_IjLj3EElll,@function
_ZL16dequantize_blockILi32ELi2EXadL_ZL15dequantize_q4_1PKvliR15HIP_vector_typeIfLj2EEEE14__hip_bfloat16EvS1_PT2_lllS2_IjLj3EElll: ; @_ZL16dequantize_blockILi32ELi2EXadL_ZL15dequantize_q4_1PKvliR15HIP_vector_typeIfLj2EEEE14__hip_bfloat16EvS1_PT2_lllS2_IjLj3EElll
; %bb.0:
	s_mov_b32 s10, s7
	s_load_dword s7, s[4:5], 0x5c
	s_load_dwordx4 s[0:3], s[4:5], 0x10
	s_add_u32 s24, s4, 0x50
	s_addc_u32 s25, s5, 0
	v_mov_b32_e32 v1, 0
	s_waitcnt lgkmcnt(0)
	s_and_b32 s7, s7, 0xffff
	v_mov_b32_e32 v2, s6
	v_mad_u64_u32 v[2:3], s[6:7], s7, v2, v[0:1]
	v_lshlrev_b64 v[0:1], 1, v[2:3]
	v_cmp_gt_i64_e32 vcc, s[0:1], v[0:1]
	s_and_saveexec_b64 s[6:7], vcc
	s_cbranch_execz .LBB49_15
; %bb.1:
	s_load_dwordx2 s[26:27], s[4:5], 0x20
	s_mov_b32 s11, 0
	v_pk_mov_b32 v[0:1], s[2:3], s[2:3] op_sel:[0,1]
	v_cmp_ge_i64_e32 vcc, s[10:11], v[0:1]
	s_cbranch_vccnz .LBB49_15
; %bb.2:
	s_load_dwordx4 s[20:23], s[4:5], 0x0
	s_load_dwordx8 s[12:19], s[4:5], 0x28
	s_load_dwordx2 s[6:7], s[4:5], 0x48
	s_mul_i32 s4, s3, s8
	s_mul_hi_u32 s5, s2, s8
	s_add_i32 s5, s5, s4
	s_mul_i32 s4, s2, s8
	s_add_u32 s4, s4, s10
	s_addc_u32 s5, s5, 0
	s_mul_i32 s5, s0, s5
	s_waitcnt lgkmcnt(0)
	s_mul_hi_u32 s15, s0, s4
	s_add_i32 s5, s15, s5
	s_mul_i32 s15, s1, s4
	v_lshrrev_b64 v[0:1], 4, v[2:3]
	s_add_i32 s5, s5, s15
	s_mul_i32 s4, s0, s4
	s_load_dword s28, s[24:25], 0x4
	s_lshl_b64 s[4:5], s[4:5], 1
	v_lshlrev_b64 v[4:5], 6, v[0:1]
	v_and_b32_e32 v2, 15, v2
	v_mov_b32_e32 v8, s5
	v_add_co_u32_e32 v4, vcc, s4, v4
	v_addc_co_u32_e32 v5, vcc, v8, v5, vcc
	v_lshlrev_b32_e32 v8, 1, v2
	v_add_co_u32_e32 v4, vcc, v4, v8
	v_addc_co_u32_e32 v5, vcc, 0, v5, vcc
	v_mov_b32_e32 v8, s23
	v_add_co_u32_e32 v4, vcc, s22, v4
	s_waitcnt lgkmcnt(0)
	s_mul_i32 s4, s1, s28
	s_mul_hi_u32 s5, s0, s28
	s_mul_i32 s1, s2, s1
	s_mul_hi_u32 s15, s2, s0
	v_addc_co_u32_e32 v5, vcc, v5, v8, vcc
	s_add_i32 s5, s5, s4
	s_mul_i32 s4, s0, s28
	s_add_i32 s1, s15, s1
	s_mul_i32 s15, s3, s0
	s_mov_b32 s9, s11
	v_pk_mov_b32 v[6:7], s[26:27], s[26:27] op_sel:[0,1]
	v_add_co_u32_e32 v4, vcc, 32, v4
	s_lshl_b64 s[4:5], s[4:5], 1
	s_add_i32 s1, s1, s15
	s_mul_i32 s0, s2, s0
	v_mov_b32_e32 v3, 0
	v_addc_co_u32_e32 v5, vcc, 0, v5, vcc
	s_lshl_b64 s[22:23], s[0:1], 1
	s_sub_i32 s29, 0, s14
	v_cmp_lt_i64_e64 s[0:1], s[8:9], v[6:7]
	s_mov_b32 s30, 0x7f800000
	s_movk_i32 s31, 0x7fff
	v_mov_b32_e32 v12, s5
	v_pk_mov_b32 v[8:9], s[2:3], s[2:3] op_sel:[0,1]
	s_branch .LBB49_4
.LBB49_3:                               ;   in Loop: Header=BB49_4 Depth=1
	s_add_u32 s10, s10, s28
	v_add_co_u32_e32 v4, vcc, s4, v4
	s_addc_u32 s11, s11, 0
	v_addc_co_u32_e32 v5, vcc, v5, v12, vcc
	v_cmp_ge_i64_e32 vcc, s[10:11], v[8:9]
	s_cbranch_vccnz .LBB49_15
.LBB49_4:                               ; =>This Loop Header: Depth=1
                                        ;     Child Loop BB49_7 Depth 2
	s_andn2_b64 vcc, exec, s[0:1]
	s_cbranch_vccnz .LBB49_3
; %bb.5:                                ;   in Loop: Header=BB49_4 Depth=1
	s_load_dword s5, s[24:25], 0x8
	s_mul_i32 s2, s10, s17
	s_mul_hi_u32 s3, s10, s16
	s_add_i32 s2, s3, s2
	s_mul_i32 s3, s11, s16
	s_add_i32 s26, s2, s3
	s_waitcnt lgkmcnt(0)
	s_mul_i32 s2, s23, s5
	s_mul_hi_u32 s3, s22, s5
	s_add_i32 s2, s3, s2
	s_mul_i32 s27, s10, s16
	s_mul_i32 s33, s22, s5
	v_mov_b32_e32 v13, s2
	v_pk_mov_b32 v[10:11], v[4:5], v[4:5] op_sel:[0,1]
	s_mov_b64 s[2:3], s[8:9]
	s_branch .LBB49_7
.LBB49_6:                               ;   in Loop: Header=BB49_7 Depth=2
	s_or_b64 exec, exec, s[14:15]
	global_store_short_d16_hi v[10:11], v14, off
	s_add_u32 s2, s2, s5
	v_add_co_u32_e32 v10, vcc, s33, v10
	s_addc_u32 s3, s3, 0
	v_addc_co_u32_e32 v11, vcc, v11, v13, vcc
	v_cmp_ge_i64_e32 vcc, s[2:3], v[6:7]
	s_cbranch_vccnz .LBB49_3
.LBB49_7:                               ;   Parent Loop BB49_4 Depth=1
                                        ; =>  This Inner Loop Header: Depth=2
	s_mul_hi_u32 s14, s12, s2
	s_add_i32 s14, s2, s14
	s_lshr_b32 s14, s14, s13
	s_mul_i32 s15, s29, s14
	s_add_i32 s15, s2, s15
	s_mul_i32 s34, s14, s7
	s_mul_hi_u32 s35, s14, s6
	s_add_i32 s34, s35, s34
	s_mul_i32 s14, s14, s6
	s_mul_i32 s35, s15, s19
	s_mul_hi_u32 s36, s15, s18
	s_add_i32 s35, s36, s35
	s_mul_i32 s34, s34, 20
	s_mul_hi_u32 s36, s14, 20
	s_add_i32 s36, s36, s34
	s_mul_i32 s14, s14, 20
	s_mul_i32 s15, s15, s18
	s_add_u32 s14, s20, s14
	s_addc_u32 s34, s21, s36
	s_mul_i32 s35, s35, 20
	s_mul_hi_u32 s36, s15, 20
	s_add_i32 s36, s36, s35
	s_mul_i32 s15, s15, 20
	s_add_u32 s14, s14, s15
	s_addc_u32 s15, s34, s36
	s_mul_i32 s34, s26, 20
	s_mul_hi_u32 s35, s27, 20
	s_add_i32 s35, s35, s34
	s_mul_i32 s34, s27, 20
	s_add_u32 s14, s14, s34
	s_addc_u32 s15, s15, s35
	v_mad_u64_u32 v[16:17], s[14:15], v0, 20, s[14:15]
	v_mov_b32_e32 v14, v17
	v_mad_u64_u32 v[14:15], s[14:15], v1, 20, v[14:15]
	v_mov_b32_e32 v17, v14
	v_add_co_u32_e32 v18, vcc, v16, v2
	v_addc_co_u32_e32 v19, vcc, 0, v17, vcc
	global_load_ubyte v14, v[18:19], off offset:4
	global_load_dword v15, v[16:17], off
	s_waitcnt vmcnt(1)
	v_and_b32_e32 v16, 15, v14
	v_cvt_f32_ubyte0_e32 v16, v16
	s_waitcnt vmcnt(0)
	v_fma_mix_f32 v17, v15, v16, v15 op_sel:[0,0,1] op_sel_hi:[1,0,1]
	v_and_b32_e32 v16, 0x7f800000, v17
	v_cmp_ne_u32_e32 vcc, s30, v16
                                        ; implicit-def: $vgpr16
	s_and_saveexec_b64 s[14:15], vcc
	s_xor_b64 s[14:15], exec, s[14:15]
; %bb.8:                                ;   in Loop: Header=BB49_7 Depth=2
	v_bfe_u32 v16, v17, 16, 1
	v_add3_u32 v16, v17, v16, s31
                                        ; implicit-def: $vgpr17
; %bb.9:                                ;   in Loop: Header=BB49_7 Depth=2
	s_andn2_saveexec_b64 s[14:15], s[14:15]
; %bb.10:                               ;   in Loop: Header=BB49_7 Depth=2
	v_or_b32_e32 v16, 0x10000, v17
	v_cmp_eq_u32_sdwa vcc, v17, v3 src0_sel:WORD_0 src1_sel:DWORD
	v_cndmask_b32_e32 v16, v16, v17, vcc
; %bb.11:                               ;   in Loop: Header=BB49_7 Depth=2
	s_or_b64 exec, exec, s[14:15]
	v_cvt_f32_f16_e32 v17, v15
	v_cvt_f32_f16_sdwa v15, v15 dst_sel:DWORD dst_unused:UNUSED_PAD src0_sel:WORD_1
	v_lshrrev_b32_e32 v14, 4, v14
	v_cvt_f32_ubyte0_e32 v14, v14
	global_store_short_d16_hi v[10:11], v16, off offset:-32
	v_fmac_f32_e32 v15, v17, v14
	v_and_b32_e32 v14, 0x7f800000, v15
	v_cmp_ne_u32_e32 vcc, s30, v14
                                        ; implicit-def: $vgpr14
	s_and_saveexec_b64 s[14:15], vcc
	s_xor_b64 s[14:15], exec, s[14:15]
; %bb.12:                               ;   in Loop: Header=BB49_7 Depth=2
	v_bfe_u32 v14, v15, 16, 1
	v_add3_u32 v14, v15, v14, s31
                                        ; implicit-def: $vgpr15
; %bb.13:                               ;   in Loop: Header=BB49_7 Depth=2
	s_andn2_saveexec_b64 s[14:15], s[14:15]
	s_cbranch_execz .LBB49_6
; %bb.14:                               ;   in Loop: Header=BB49_7 Depth=2
	v_or_b32_e32 v14, 0x10000, v15
	v_cmp_eq_u32_sdwa vcc, v15, v3 src0_sel:WORD_0 src1_sel:DWORD
	v_cndmask_b32_e32 v14, v14, v15, vcc
	s_branch .LBB49_6
.LBB49_15:
	s_endpgm
	.section	.rodata,"a",@progbits
	.p2align	6, 0x0
	.amdhsa_kernel _ZL16dequantize_blockILi32ELi2EXadL_ZL15dequantize_q4_1PKvliR15HIP_vector_typeIfLj2EEEE14__hip_bfloat16EvS1_PT2_lllS2_IjLj3EElll
		.amdhsa_group_segment_fixed_size 0
		.amdhsa_private_segment_fixed_size 0
		.amdhsa_kernarg_size 336
		.amdhsa_user_sgpr_count 6
		.amdhsa_user_sgpr_private_segment_buffer 1
		.amdhsa_user_sgpr_dispatch_ptr 0
		.amdhsa_user_sgpr_queue_ptr 0
		.amdhsa_user_sgpr_kernarg_segment_ptr 1
		.amdhsa_user_sgpr_dispatch_id 0
		.amdhsa_user_sgpr_flat_scratch_init 0
		.amdhsa_user_sgpr_kernarg_preload_length 0
		.amdhsa_user_sgpr_kernarg_preload_offset 0
		.amdhsa_user_sgpr_private_segment_size 0
		.amdhsa_uses_dynamic_stack 0
		.amdhsa_system_sgpr_private_segment_wavefront_offset 0
		.amdhsa_system_sgpr_workgroup_id_x 1
		.amdhsa_system_sgpr_workgroup_id_y 1
		.amdhsa_system_sgpr_workgroup_id_z 1
		.amdhsa_system_sgpr_workgroup_info 0
		.amdhsa_system_vgpr_workitem_id 0
		.amdhsa_next_free_vgpr 20
		.amdhsa_next_free_sgpr 37
		.amdhsa_accum_offset 20
		.amdhsa_reserve_vcc 1
		.amdhsa_reserve_flat_scratch 0
		.amdhsa_float_round_mode_32 0
		.amdhsa_float_round_mode_16_64 0
		.amdhsa_float_denorm_mode_32 3
		.amdhsa_float_denorm_mode_16_64 3
		.amdhsa_dx10_clamp 1
		.amdhsa_ieee_mode 1
		.amdhsa_fp16_overflow 0
		.amdhsa_tg_split 0
		.amdhsa_exception_fp_ieee_invalid_op 0
		.amdhsa_exception_fp_denorm_src 0
		.amdhsa_exception_fp_ieee_div_zero 0
		.amdhsa_exception_fp_ieee_overflow 0
		.amdhsa_exception_fp_ieee_underflow 0
		.amdhsa_exception_fp_ieee_inexact 0
		.amdhsa_exception_int_div_zero 0
	.end_amdhsa_kernel
	.section	.text._ZL16dequantize_blockILi32ELi2EXadL_ZL15dequantize_q4_1PKvliR15HIP_vector_typeIfLj2EEEE14__hip_bfloat16EvS1_PT2_lllS2_IjLj3EElll,"axG",@progbits,_ZL16dequantize_blockILi32ELi2EXadL_ZL15dequantize_q4_1PKvliR15HIP_vector_typeIfLj2EEEE14__hip_bfloat16EvS1_PT2_lllS2_IjLj3EElll,comdat
.Lfunc_end49:
	.size	_ZL16dequantize_blockILi32ELi2EXadL_ZL15dequantize_q4_1PKvliR15HIP_vector_typeIfLj2EEEE14__hip_bfloat16EvS1_PT2_lllS2_IjLj3EElll, .Lfunc_end49-_ZL16dequantize_blockILi32ELi2EXadL_ZL15dequantize_q4_1PKvliR15HIP_vector_typeIfLj2EEEE14__hip_bfloat16EvS1_PT2_lllS2_IjLj3EElll
                                        ; -- End function
	.section	.AMDGPU.csdata,"",@progbits
; Kernel info:
; codeLenInByte = 872
; NumSgprs: 41
; NumVgprs: 20
; NumAgprs: 0
; TotalNumVgprs: 20
; ScratchSize: 0
; MemoryBound: 0
; FloatMode: 240
; IeeeMode: 1
; LDSByteSize: 0 bytes/workgroup (compile time only)
; SGPRBlocks: 5
; VGPRBlocks: 2
; NumSGPRsForWavesPerEU: 41
; NumVGPRsForWavesPerEU: 20
; AccumOffset: 20
; Occupancy: 8
; WaveLimiterHint : 0
; COMPUTE_PGM_RSRC2:SCRATCH_EN: 0
; COMPUTE_PGM_RSRC2:USER_SGPR: 6
; COMPUTE_PGM_RSRC2:TRAP_HANDLER: 0
; COMPUTE_PGM_RSRC2:TGID_X_EN: 1
; COMPUTE_PGM_RSRC2:TGID_Y_EN: 1
; COMPUTE_PGM_RSRC2:TGID_Z_EN: 1
; COMPUTE_PGM_RSRC2:TIDIG_COMP_CNT: 0
; COMPUTE_PGM_RSRC3_GFX90A:ACCUM_OFFSET: 4
; COMPUTE_PGM_RSRC3_GFX90A:TG_SPLIT: 0
	.section	.text._ZL16dequantize_blockILi32ELi2EXadL_ZL15dequantize_q5_0PKvliR15HIP_vector_typeIfLj2EEEE14__hip_bfloat16EvS1_PT2_lllS2_IjLj3EElll,"axG",@progbits,_ZL16dequantize_blockILi32ELi2EXadL_ZL15dequantize_q5_0PKvliR15HIP_vector_typeIfLj2EEEE14__hip_bfloat16EvS1_PT2_lllS2_IjLj3EElll,comdat
	.globl	_ZL16dequantize_blockILi32ELi2EXadL_ZL15dequantize_q5_0PKvliR15HIP_vector_typeIfLj2EEEE14__hip_bfloat16EvS1_PT2_lllS2_IjLj3EElll ; -- Begin function _ZL16dequantize_blockILi32ELi2EXadL_ZL15dequantize_q5_0PKvliR15HIP_vector_typeIfLj2EEEE14__hip_bfloat16EvS1_PT2_lllS2_IjLj3EElll
	.p2align	8
	.type	_ZL16dequantize_blockILi32ELi2EXadL_ZL15dequantize_q5_0PKvliR15HIP_vector_typeIfLj2EEEE14__hip_bfloat16EvS1_PT2_lllS2_IjLj3EElll,@function
_ZL16dequantize_blockILi32ELi2EXadL_ZL15dequantize_q5_0PKvliR15HIP_vector_typeIfLj2EEEE14__hip_bfloat16EvS1_PT2_lllS2_IjLj3EElll: ; @_ZL16dequantize_blockILi32ELi2EXadL_ZL15dequantize_q5_0PKvliR15HIP_vector_typeIfLj2EEEE14__hip_bfloat16EvS1_PT2_lllS2_IjLj3EElll
; %bb.0:
	s_mov_b32 s10, s7
	s_load_dword s7, s[4:5], 0x5c
	s_load_dwordx4 s[0:3], s[4:5], 0x10
	s_add_u32 s24, s4, 0x50
	s_addc_u32 s25, s5, 0
	v_mov_b32_e32 v1, 0
	s_waitcnt lgkmcnt(0)
	s_and_b32 s7, s7, 0xffff
	v_mov_b32_e32 v2, s6
	v_mad_u64_u32 v[2:3], s[6:7], s7, v2, v[0:1]
	v_lshlrev_b64 v[0:1], 1, v[2:3]
	v_cmp_gt_i64_e32 vcc, s[0:1], v[0:1]
	s_and_saveexec_b64 s[6:7], vcc
	s_cbranch_execz .LBB50_15
; %bb.1:
	s_load_dwordx2 s[26:27], s[4:5], 0x20
	s_mov_b32 s11, 0
	v_pk_mov_b32 v[0:1], s[2:3], s[2:3] op_sel:[0,1]
	v_cmp_ge_i64_e32 vcc, s[10:11], v[0:1]
	s_cbranch_vccnz .LBB50_15
; %bb.2:
	s_load_dwordx4 s[20:23], s[4:5], 0x0
	s_load_dwordx8 s[12:19], s[4:5], 0x28
	s_load_dwordx2 s[6:7], s[4:5], 0x48
	s_mul_i32 s4, s3, s8
	s_mul_hi_u32 s5, s2, s8
	s_add_i32 s5, s5, s4
	s_mul_i32 s4, s2, s8
	s_add_u32 s4, s4, s10
	s_addc_u32 s5, s5, 0
	s_mul_i32 s5, s0, s5
	s_waitcnt lgkmcnt(0)
	s_mul_hi_u32 s15, s0, s4
	s_add_i32 s5, s15, s5
	s_mul_i32 s15, s1, s4
	v_lshrrev_b64 v[0:1], 4, v[2:3]
	s_add_i32 s5, s5, s15
	s_mul_i32 s4, s0, s4
	s_load_dword s28, s[24:25], 0x4
	s_lshl_b64 s[4:5], s[4:5], 1
	v_lshlrev_b64 v[4:5], 6, v[0:1]
	v_and_b32_e32 v2, 15, v2
	v_mov_b32_e32 v8, s5
	v_add_co_u32_e32 v4, vcc, s4, v4
	v_addc_co_u32_e32 v5, vcc, v8, v5, vcc
	v_lshlrev_b32_e32 v8, 1, v2
	v_add_co_u32_e32 v4, vcc, v4, v8
	v_addc_co_u32_e32 v5, vcc, 0, v5, vcc
	v_mov_b32_e32 v8, s23
	v_add_co_u32_e32 v4, vcc, s22, v4
	s_waitcnt lgkmcnt(0)
	s_mul_i32 s4, s1, s28
	s_mul_hi_u32 s5, s0, s28
	s_mul_i32 s1, s2, s1
	s_mul_hi_u32 s15, s2, s0
	v_addc_co_u32_e32 v5, vcc, v5, v8, vcc
	s_add_i32 s5, s5, s4
	s_mul_i32 s4, s0, s28
	s_add_i32 s1, s15, s1
	s_mul_i32 s15, s3, s0
	s_mov_b32 s9, s11
	v_pk_mov_b32 v[6:7], s[26:27], s[26:27] op_sel:[0,1]
	v_add_co_u32_e32 v4, vcc, 32, v4
	s_lshl_b64 s[4:5], s[4:5], 1
	s_add_i32 s1, s1, s15
	s_mul_i32 s0, s2, s0
	v_mov_b32_e32 v3, 0
	v_add_u32_e32 v12, 12, v2
	v_addc_co_u32_e32 v5, vcc, 0, v5, vcc
	s_lshl_b64 s[22:23], s[0:1], 1
	s_sub_i32 s29, 0, s14
	v_cmp_lt_i64_e64 s[0:1], s[8:9], v[6:7]
	s_mov_b32 s30, 0x1000706
	s_mov_b32 s31, 0x7f800000
	s_movk_i32 s33, 0x7fff
	v_mov_b32_e32 v13, s5
	v_pk_mov_b32 v[8:9], s[2:3], s[2:3] op_sel:[0,1]
	s_branch .LBB50_4
.LBB50_3:                               ;   in Loop: Header=BB50_4 Depth=1
	s_add_u32 s10, s10, s28
	v_add_co_u32_e32 v4, vcc, s4, v4
	s_addc_u32 s11, s11, 0
	v_addc_co_u32_e32 v5, vcc, v5, v13, vcc
	v_cmp_ge_i64_e32 vcc, s[10:11], v[8:9]
	s_cbranch_vccnz .LBB50_15
.LBB50_4:                               ; =>This Loop Header: Depth=1
                                        ;     Child Loop BB50_7 Depth 2
	s_andn2_b64 vcc, exec, s[0:1]
	s_cbranch_vccnz .LBB50_3
; %bb.5:                                ;   in Loop: Header=BB50_4 Depth=1
	s_load_dword s5, s[24:25], 0x8
	s_mul_i32 s2, s10, s17
	s_mul_hi_u32 s3, s10, s16
	s_add_i32 s2, s3, s2
	s_mul_i32 s3, s11, s16
	s_add_i32 s26, s2, s3
	s_waitcnt lgkmcnt(0)
	s_mul_i32 s2, s23, s5
	s_mul_hi_u32 s3, s22, s5
	s_add_i32 s2, s3, s2
	s_mul_i32 s27, s10, s16
	s_mul_i32 s34, s22, s5
	v_mov_b32_e32 v14, s2
	v_pk_mov_b32 v[10:11], v[4:5], v[4:5] op_sel:[0,1]
	s_mov_b64 s[2:3], s[8:9]
	s_branch .LBB50_7
.LBB50_6:                               ;   in Loop: Header=BB50_7 Depth=2
	s_or_b64 exec, exec, s[14:15]
	global_store_short_d16_hi v[10:11], v16, off
	s_add_u32 s2, s2, s5
	v_add_co_u32_e32 v10, vcc, s34, v10
	s_addc_u32 s3, s3, 0
	v_addc_co_u32_e32 v11, vcc, v11, v14, vcc
	v_cmp_ge_i64_e32 vcc, s[2:3], v[6:7]
	s_cbranch_vccnz .LBB50_3
.LBB50_7:                               ;   Parent Loop BB50_4 Depth=1
                                        ; =>  This Inner Loop Header: Depth=2
	s_mul_hi_u32 s14, s12, s2
	s_add_i32 s14, s2, s14
	s_lshr_b32 s14, s14, s13
	s_mul_i32 s15, s29, s14
	s_add_i32 s15, s2, s15
	s_mul_i32 s35, s14, s7
	s_mul_hi_u32 s36, s14, s6
	s_add_i32 s35, s36, s35
	s_mul_i32 s14, s14, s6
	s_mul_i32 s36, s15, s19
	s_mul_hi_u32 s37, s15, s18
	s_add_i32 s36, s37, s36
	s_mul_i32 s35, s35, 22
	s_mul_hi_u32 s37, s14, 22
	s_add_i32 s37, s37, s35
	s_mul_i32 s14, s14, 22
	s_mul_i32 s15, s15, s18
	s_add_u32 s14, s20, s14
	s_addc_u32 s35, s21, s37
	s_mul_i32 s36, s36, 22
	s_mul_hi_u32 s37, s15, 22
	s_add_i32 s37, s37, s36
	s_mul_i32 s15, s15, 22
	s_add_u32 s14, s14, s15
	s_addc_u32 s15, s35, s37
	s_mul_i32 s35, s26, 22
	s_mul_hi_u32 s36, s27, 22
	s_add_i32 s36, s36, s35
	s_mul_i32 s35, s27, 22
	s_add_u32 s14, s14, s35
	s_addc_u32 s15, s15, s36
	v_mad_u64_u32 v[16:17], s[14:15], v0, 22, s[14:15]
	v_mov_b32_e32 v18, v17
	v_mad_u64_u32 v[18:19], s[14:15], v1, 22, v[18:19]
	v_mov_b32_e32 v17, v18
	global_load_dword v18, v[16:17], off
	global_load_ushort v19, v[16:17], off offset:4
	v_add_co_u32_e32 v16, vcc, v16, v2
	v_addc_co_u32_e32 v17, vcc, 0, v17, vcc
	global_load_ubyte v16, v[16:17], off offset:6
	s_waitcnt vmcnt(2)
	v_cvt_f32_f16_e32 v15, v18
	s_waitcnt vmcnt(1)
	v_perm_b32 v17, v18, v19, s30
	v_lshrrev_b32_e32 v18, v2, v17
	v_lshlrev_b32_e32 v18, 4, v18
	v_and_b32_e32 v18, 16, v18
	s_waitcnt vmcnt(0)
	v_or_b32_e32 v19, -16, v16
	v_add_u32_e32 v18, v19, v18
	v_cvt_f32_i32_e32 v18, v18
	v_mul_f32_e32 v19, v15, v18
	v_and_b32_e32 v18, 0x7f800000, v19
	v_cmp_ne_u32_e32 vcc, s31, v18
                                        ; implicit-def: $vgpr18
	s_and_saveexec_b64 s[14:15], vcc
	s_xor_b64 s[14:15], exec, s[14:15]
; %bb.8:                                ;   in Loop: Header=BB50_7 Depth=2
	v_bfe_u32 v18, v19, 16, 1
	v_add3_u32 v18, v19, v18, s33
                                        ; implicit-def: $vgpr19
; %bb.9:                                ;   in Loop: Header=BB50_7 Depth=2
	s_andn2_saveexec_b64 s[14:15], s[14:15]
; %bb.10:                               ;   in Loop: Header=BB50_7 Depth=2
	v_or_b32_e32 v18, 0x10000, v19
	v_cmp_eq_u32_sdwa vcc, v19, v3 src0_sel:WORD_0 src1_sel:DWORD
	v_cndmask_b32_e32 v18, v18, v19, vcc
; %bb.11:                               ;   in Loop: Header=BB50_7 Depth=2
	s_or_b64 exec, exec, s[14:15]
	v_lshrrev_b32_e32 v17, v12, v17
	v_lshrrev_b16_e32 v16, 4, v16
	v_and_b32_e32 v17, 16, v17
	v_or_b32_e32 v16, -16, v16
	v_add_u32_sdwa v16, v17, sext(v16) dst_sel:DWORD dst_unused:UNUSED_PAD src0_sel:DWORD src1_sel:WORD_0
	v_cvt_f32_i32_e32 v16, v16
	global_store_short_d16_hi v[10:11], v18, off offset:-32
	v_mul_f32_e32 v15, v15, v16
	v_and_b32_e32 v16, 0x7f800000, v15
	v_cmp_ne_u32_e32 vcc, s31, v16
                                        ; implicit-def: $vgpr16
	s_and_saveexec_b64 s[14:15], vcc
	s_xor_b64 s[14:15], exec, s[14:15]
; %bb.12:                               ;   in Loop: Header=BB50_7 Depth=2
	v_bfe_u32 v16, v15, 16, 1
	v_add3_u32 v16, v15, v16, s33
                                        ; implicit-def: $vgpr15
; %bb.13:                               ;   in Loop: Header=BB50_7 Depth=2
	s_andn2_saveexec_b64 s[14:15], s[14:15]
	s_cbranch_execz .LBB50_6
; %bb.14:                               ;   in Loop: Header=BB50_7 Depth=2
	v_or_b32_e32 v16, 0x10000, v15
	v_cmp_eq_u32_sdwa vcc, v15, v3 src0_sel:WORD_0 src1_sel:DWORD
	v_cndmask_b32_e32 v16, v16, v15, vcc
	s_branch .LBB50_6
.LBB50_15:
	s_endpgm
	.section	.rodata,"a",@progbits
	.p2align	6, 0x0
	.amdhsa_kernel _ZL16dequantize_blockILi32ELi2EXadL_ZL15dequantize_q5_0PKvliR15HIP_vector_typeIfLj2EEEE14__hip_bfloat16EvS1_PT2_lllS2_IjLj3EElll
		.amdhsa_group_segment_fixed_size 0
		.amdhsa_private_segment_fixed_size 0
		.amdhsa_kernarg_size 336
		.amdhsa_user_sgpr_count 6
		.amdhsa_user_sgpr_private_segment_buffer 1
		.amdhsa_user_sgpr_dispatch_ptr 0
		.amdhsa_user_sgpr_queue_ptr 0
		.amdhsa_user_sgpr_kernarg_segment_ptr 1
		.amdhsa_user_sgpr_dispatch_id 0
		.amdhsa_user_sgpr_flat_scratch_init 0
		.amdhsa_user_sgpr_kernarg_preload_length 0
		.amdhsa_user_sgpr_kernarg_preload_offset 0
		.amdhsa_user_sgpr_private_segment_size 0
		.amdhsa_uses_dynamic_stack 0
		.amdhsa_system_sgpr_private_segment_wavefront_offset 0
		.amdhsa_system_sgpr_workgroup_id_x 1
		.amdhsa_system_sgpr_workgroup_id_y 1
		.amdhsa_system_sgpr_workgroup_id_z 1
		.amdhsa_system_sgpr_workgroup_info 0
		.amdhsa_system_vgpr_workitem_id 0
		.amdhsa_next_free_vgpr 20
		.amdhsa_next_free_sgpr 38
		.amdhsa_accum_offset 20
		.amdhsa_reserve_vcc 1
		.amdhsa_reserve_flat_scratch 0
		.amdhsa_float_round_mode_32 0
		.amdhsa_float_round_mode_16_64 0
		.amdhsa_float_denorm_mode_32 3
		.amdhsa_float_denorm_mode_16_64 3
		.amdhsa_dx10_clamp 1
		.amdhsa_ieee_mode 1
		.amdhsa_fp16_overflow 0
		.amdhsa_tg_split 0
		.amdhsa_exception_fp_ieee_invalid_op 0
		.amdhsa_exception_fp_denorm_src 0
		.amdhsa_exception_fp_ieee_div_zero 0
		.amdhsa_exception_fp_ieee_overflow 0
		.amdhsa_exception_fp_ieee_underflow 0
		.amdhsa_exception_fp_ieee_inexact 0
		.amdhsa_exception_int_div_zero 0
	.end_amdhsa_kernel
	.section	.text._ZL16dequantize_blockILi32ELi2EXadL_ZL15dequantize_q5_0PKvliR15HIP_vector_typeIfLj2EEEE14__hip_bfloat16EvS1_PT2_lllS2_IjLj3EElll,"axG",@progbits,_ZL16dequantize_blockILi32ELi2EXadL_ZL15dequantize_q5_0PKvliR15HIP_vector_typeIfLj2EEEE14__hip_bfloat16EvS1_PT2_lllS2_IjLj3EElll,comdat
.Lfunc_end50:
	.size	_ZL16dequantize_blockILi32ELi2EXadL_ZL15dequantize_q5_0PKvliR15HIP_vector_typeIfLj2EEEE14__hip_bfloat16EvS1_PT2_lllS2_IjLj3EElll, .Lfunc_end50-_ZL16dequantize_blockILi32ELi2EXadL_ZL15dequantize_q5_0PKvliR15HIP_vector_typeIfLj2EEEE14__hip_bfloat16EvS1_PT2_lllS2_IjLj3EElll
                                        ; -- End function
	.section	.AMDGPU.csdata,"",@progbits
; Kernel info:
; codeLenInByte = 928
; NumSgprs: 42
; NumVgprs: 20
; NumAgprs: 0
; TotalNumVgprs: 20
; ScratchSize: 0
; MemoryBound: 0
; FloatMode: 240
; IeeeMode: 1
; LDSByteSize: 0 bytes/workgroup (compile time only)
; SGPRBlocks: 5
; VGPRBlocks: 2
; NumSGPRsForWavesPerEU: 42
; NumVGPRsForWavesPerEU: 20
; AccumOffset: 20
; Occupancy: 8
; WaveLimiterHint : 0
; COMPUTE_PGM_RSRC2:SCRATCH_EN: 0
; COMPUTE_PGM_RSRC2:USER_SGPR: 6
; COMPUTE_PGM_RSRC2:TRAP_HANDLER: 0
; COMPUTE_PGM_RSRC2:TGID_X_EN: 1
; COMPUTE_PGM_RSRC2:TGID_Y_EN: 1
; COMPUTE_PGM_RSRC2:TGID_Z_EN: 1
; COMPUTE_PGM_RSRC2:TIDIG_COMP_CNT: 0
; COMPUTE_PGM_RSRC3_GFX90A:ACCUM_OFFSET: 4
; COMPUTE_PGM_RSRC3_GFX90A:TG_SPLIT: 0
	.section	.text._ZL16dequantize_blockILi32ELi2EXadL_ZL15dequantize_q5_1PKvliR15HIP_vector_typeIfLj2EEEE14__hip_bfloat16EvS1_PT2_lllS2_IjLj3EElll,"axG",@progbits,_ZL16dequantize_blockILi32ELi2EXadL_ZL15dequantize_q5_1PKvliR15HIP_vector_typeIfLj2EEEE14__hip_bfloat16EvS1_PT2_lllS2_IjLj3EElll,comdat
	.globl	_ZL16dequantize_blockILi32ELi2EXadL_ZL15dequantize_q5_1PKvliR15HIP_vector_typeIfLj2EEEE14__hip_bfloat16EvS1_PT2_lllS2_IjLj3EElll ; -- Begin function _ZL16dequantize_blockILi32ELi2EXadL_ZL15dequantize_q5_1PKvliR15HIP_vector_typeIfLj2EEEE14__hip_bfloat16EvS1_PT2_lllS2_IjLj3EElll
	.p2align	8
	.type	_ZL16dequantize_blockILi32ELi2EXadL_ZL15dequantize_q5_1PKvliR15HIP_vector_typeIfLj2EEEE14__hip_bfloat16EvS1_PT2_lllS2_IjLj3EElll,@function
_ZL16dequantize_blockILi32ELi2EXadL_ZL15dequantize_q5_1PKvliR15HIP_vector_typeIfLj2EEEE14__hip_bfloat16EvS1_PT2_lllS2_IjLj3EElll: ; @_ZL16dequantize_blockILi32ELi2EXadL_ZL15dequantize_q5_1PKvliR15HIP_vector_typeIfLj2EEEE14__hip_bfloat16EvS1_PT2_lllS2_IjLj3EElll
; %bb.0:
	s_mov_b32 s10, s7
	s_load_dword s7, s[4:5], 0x5c
	s_load_dwordx4 s[0:3], s[4:5], 0x10
	s_add_u32 s24, s4, 0x50
	s_addc_u32 s25, s5, 0
	v_mov_b32_e32 v1, 0
	s_waitcnt lgkmcnt(0)
	s_and_b32 s7, s7, 0xffff
	v_mov_b32_e32 v2, s6
	v_mad_u64_u32 v[2:3], s[6:7], s7, v2, v[0:1]
	v_lshlrev_b64 v[0:1], 1, v[2:3]
	v_cmp_gt_i64_e32 vcc, s[0:1], v[0:1]
	s_and_saveexec_b64 s[6:7], vcc
	s_cbranch_execz .LBB51_15
; %bb.1:
	s_load_dwordx2 s[26:27], s[4:5], 0x20
	s_mov_b32 s11, 0
	v_pk_mov_b32 v[0:1], s[2:3], s[2:3] op_sel:[0,1]
	v_cmp_ge_i64_e32 vcc, s[10:11], v[0:1]
	s_cbranch_vccnz .LBB51_15
; %bb.2:
	s_load_dwordx4 s[20:23], s[4:5], 0x0
	s_load_dwordx8 s[12:19], s[4:5], 0x28
	s_load_dwordx2 s[6:7], s[4:5], 0x48
	s_mul_i32 s4, s3, s8
	s_mul_hi_u32 s5, s2, s8
	s_add_i32 s5, s5, s4
	s_mul_i32 s4, s2, s8
	s_add_u32 s4, s4, s10
	s_addc_u32 s5, s5, 0
	s_mul_i32 s5, s0, s5
	s_waitcnt lgkmcnt(0)
	s_mul_hi_u32 s15, s0, s4
	s_add_i32 s5, s15, s5
	s_mul_i32 s15, s1, s4
	v_lshrrev_b64 v[0:1], 4, v[2:3]
	s_add_i32 s5, s5, s15
	s_mul_i32 s4, s0, s4
	s_load_dword s28, s[24:25], 0x4
	s_lshl_b64 s[4:5], s[4:5], 1
	v_lshlrev_b64 v[4:5], 6, v[0:1]
	v_and_b32_e32 v2, 15, v2
	v_mov_b32_e32 v8, s5
	v_add_co_u32_e32 v4, vcc, s4, v4
	v_addc_co_u32_e32 v5, vcc, v8, v5, vcc
	v_lshlrev_b32_e32 v8, 1, v2
	v_add_co_u32_e32 v4, vcc, v4, v8
	v_addc_co_u32_e32 v5, vcc, 0, v5, vcc
	v_mov_b32_e32 v8, s23
	v_add_co_u32_e32 v4, vcc, s22, v4
	s_waitcnt lgkmcnt(0)
	s_mul_i32 s4, s1, s28
	s_mul_hi_u32 s5, s0, s28
	s_mul_i32 s1, s2, s1
	s_mul_hi_u32 s15, s2, s0
	v_addc_co_u32_e32 v5, vcc, v5, v8, vcc
	s_add_i32 s5, s5, s4
	s_mul_i32 s4, s0, s28
	s_add_i32 s1, s15, s1
	s_mul_i32 s15, s3, s0
	s_mov_b32 s9, s11
	v_pk_mov_b32 v[6:7], s[26:27], s[26:27] op_sel:[0,1]
	v_add_co_u32_e32 v4, vcc, 32, v4
	s_lshl_b64 s[4:5], s[4:5], 1
	s_add_i32 s1, s1, s15
	s_mul_i32 s0, s2, s0
	v_mov_b32_e32 v3, 0
	v_add_u32_e32 v12, 12, v2
	v_addc_co_u32_e32 v5, vcc, 0, v5, vcc
	s_lshl_b64 s[22:23], s[0:1], 1
	s_sub_i32 s29, 0, s14
	v_cmp_lt_i64_e64 s[0:1], s[8:9], v[6:7]
	s_mov_b32 s30, 0x7f800000
	s_movk_i32 s31, 0x7fff
	v_mov_b32_e32 v13, s5
	v_pk_mov_b32 v[8:9], s[2:3], s[2:3] op_sel:[0,1]
	s_branch .LBB51_4
.LBB51_3:                               ;   in Loop: Header=BB51_4 Depth=1
	s_add_u32 s10, s10, s28
	v_add_co_u32_e32 v4, vcc, s4, v4
	s_addc_u32 s11, s11, 0
	v_addc_co_u32_e32 v5, vcc, v5, v13, vcc
	v_cmp_ge_i64_e32 vcc, s[10:11], v[8:9]
	s_cbranch_vccnz .LBB51_15
.LBB51_4:                               ; =>This Loop Header: Depth=1
                                        ;     Child Loop BB51_7 Depth 2
	s_andn2_b64 vcc, exec, s[0:1]
	s_cbranch_vccnz .LBB51_3
; %bb.5:                                ;   in Loop: Header=BB51_4 Depth=1
	s_load_dword s5, s[24:25], 0x8
	s_mul_i32 s2, s10, s17
	s_mul_hi_u32 s3, s10, s16
	s_add_i32 s2, s3, s2
	s_mul_i32 s3, s11, s16
	s_add_i32 s26, s2, s3
	s_waitcnt lgkmcnt(0)
	s_mul_i32 s2, s23, s5
	s_mul_hi_u32 s3, s22, s5
	s_add_i32 s2, s3, s2
	s_mul_i32 s27, s10, s16
	s_mul_i32 s33, s22, s5
	v_mov_b32_e32 v14, s2
	v_pk_mov_b32 v[10:11], v[4:5], v[4:5] op_sel:[0,1]
	s_mov_b64 s[2:3], s[8:9]
	s_branch .LBB51_7
.LBB51_6:                               ;   in Loop: Header=BB51_7 Depth=2
	s_or_b64 exec, exec, s[14:15]
	global_store_short_d16_hi v[10:11], v15, off
	s_add_u32 s2, s2, s5
	v_add_co_u32_e32 v10, vcc, s33, v10
	s_addc_u32 s3, s3, 0
	v_addc_co_u32_e32 v11, vcc, v11, v14, vcc
	v_cmp_ge_i64_e32 vcc, s[2:3], v[6:7]
	s_cbranch_vccnz .LBB51_3
.LBB51_7:                               ;   Parent Loop BB51_4 Depth=1
                                        ; =>  This Inner Loop Header: Depth=2
	s_mul_hi_u32 s14, s12, s2
	s_add_i32 s14, s2, s14
	s_lshr_b32 s14, s14, s13
	s_mul_i32 s15, s29, s14
	s_add_i32 s15, s2, s15
	s_mul_i32 s34, s14, s7
	s_mul_hi_u32 s35, s14, s6
	s_add_i32 s34, s35, s34
	s_mul_i32 s14, s14, s6
	s_mul_i32 s35, s15, s19
	s_mul_hi_u32 s36, s15, s18
	s_add_i32 s35, s36, s35
	s_mul_i32 s34, s34, 24
	s_mul_hi_u32 s36, s14, 24
	s_add_i32 s36, s36, s34
	s_mul_i32 s14, s14, 24
	s_mul_i32 s15, s15, s18
	s_add_u32 s14, s20, s14
	s_addc_u32 s34, s21, s36
	s_mul_i32 s35, s35, 24
	s_mul_hi_u32 s36, s15, 24
	s_add_i32 s36, s36, s35
	s_mul_i32 s15, s15, 24
	s_add_u32 s14, s14, s15
	s_addc_u32 s15, s34, s36
	s_mul_i32 s34, s26, 24
	s_mul_hi_u32 s35, s27, 24
	s_add_i32 s35, s35, s34
	s_mul_i32 s34, s27, 24
	s_add_u32 s14, s14, s34
	s_addc_u32 s15, s15, s35
	v_mad_u64_u32 v[18:19], s[14:15], v0, 24, s[14:15]
	v_mov_b32_e32 v16, v19
	v_mad_u64_u32 v[16:17], s[14:15], v1, 24, v[16:17]
	v_mov_b32_e32 v19, v16
	global_load_ushort v17, v[18:19], off offset:6
	global_load_ushort v22, v[18:19], off offset:4
	v_add_co_u32_e32 v20, vcc, v18, v2
	v_addc_co_u32_e32 v21, vcc, 0, v19, vcc
	global_load_ubyte v15, v[20:21], off offset:8
	global_load_dword v16, v[18:19], off
	s_waitcnt vmcnt(3)
	v_lshrrev_b16_e32 v18, 8, v17
	v_and_b32_e32 v17, 0xff, v17
	v_lshlrev_b32_e32 v18, 24, v18
	v_lshlrev_b32_e32 v17, 16, v17
	s_waitcnt vmcnt(2)
	v_or3_b32 v17, v17, v22, v18
	v_lshrrev_b32_e32 v18, v2, v17
	v_lshlrev_b32_e32 v18, 4, v18
	s_waitcnt vmcnt(1)
	v_and_b32_e32 v19, 15, v15
	v_and_or_b32 v18, v18, 16, v19
	v_cvt_f32_ubyte0_e32 v18, v18
	s_waitcnt vmcnt(0)
	v_fma_mix_f32 v19, v16, v18, v16 op_sel:[0,0,1] op_sel_hi:[1,0,1]
	v_and_b32_e32 v18, 0x7f800000, v19
	v_cmp_ne_u32_e32 vcc, s30, v18
                                        ; implicit-def: $vgpr18
	s_and_saveexec_b64 s[14:15], vcc
	s_xor_b64 s[14:15], exec, s[14:15]
; %bb.8:                                ;   in Loop: Header=BB51_7 Depth=2
	v_bfe_u32 v18, v19, 16, 1
	v_add3_u32 v18, v19, v18, s31
                                        ; implicit-def: $vgpr19
; %bb.9:                                ;   in Loop: Header=BB51_7 Depth=2
	s_andn2_saveexec_b64 s[14:15], s[14:15]
; %bb.10:                               ;   in Loop: Header=BB51_7 Depth=2
	v_or_b32_e32 v18, 0x10000, v19
	v_cmp_eq_u32_sdwa vcc, v19, v3 src0_sel:WORD_0 src1_sel:DWORD
	v_cndmask_b32_e32 v18, v18, v19, vcc
; %bb.11:                               ;   in Loop: Header=BB51_7 Depth=2
	s_or_b64 exec, exec, s[14:15]
	v_cvt_f32_f16_e32 v19, v16
	v_cvt_f32_f16_sdwa v16, v16 dst_sel:DWORD dst_unused:UNUSED_PAD src0_sel:WORD_1
	v_lshrrev_b32_e32 v17, v12, v17
	v_lshrrev_b16_e32 v15, 4, v15
	v_and_or_b32 v15, v17, 16, v15
	v_cvt_f32_ubyte0_e32 v15, v15
	v_fmac_f32_e32 v16, v19, v15
	v_and_b32_e32 v15, 0x7f800000, v16
	v_cmp_ne_u32_e32 vcc, s30, v15
	global_store_short_d16_hi v[10:11], v18, off offset:-32
                                        ; implicit-def: $vgpr15
	s_and_saveexec_b64 s[14:15], vcc
	s_xor_b64 s[14:15], exec, s[14:15]
; %bb.12:                               ;   in Loop: Header=BB51_7 Depth=2
	v_bfe_u32 v15, v16, 16, 1
	v_add3_u32 v15, v16, v15, s31
                                        ; implicit-def: $vgpr16
; %bb.13:                               ;   in Loop: Header=BB51_7 Depth=2
	s_andn2_saveexec_b64 s[14:15], s[14:15]
	s_cbranch_execz .LBB51_6
; %bb.14:                               ;   in Loop: Header=BB51_7 Depth=2
	v_or_b32_e32 v15, 0x10000, v16
	v_cmp_eq_u32_sdwa vcc, v16, v3 src0_sel:WORD_0 src1_sel:DWORD
	v_cndmask_b32_e32 v15, v15, v16, vcc
	s_branch .LBB51_6
.LBB51_15:
	s_endpgm
	.section	.rodata,"a",@progbits
	.p2align	6, 0x0
	.amdhsa_kernel _ZL16dequantize_blockILi32ELi2EXadL_ZL15dequantize_q5_1PKvliR15HIP_vector_typeIfLj2EEEE14__hip_bfloat16EvS1_PT2_lllS2_IjLj3EElll
		.amdhsa_group_segment_fixed_size 0
		.amdhsa_private_segment_fixed_size 0
		.amdhsa_kernarg_size 336
		.amdhsa_user_sgpr_count 6
		.amdhsa_user_sgpr_private_segment_buffer 1
		.amdhsa_user_sgpr_dispatch_ptr 0
		.amdhsa_user_sgpr_queue_ptr 0
		.amdhsa_user_sgpr_kernarg_segment_ptr 1
		.amdhsa_user_sgpr_dispatch_id 0
		.amdhsa_user_sgpr_flat_scratch_init 0
		.amdhsa_user_sgpr_kernarg_preload_length 0
		.amdhsa_user_sgpr_kernarg_preload_offset 0
		.amdhsa_user_sgpr_private_segment_size 0
		.amdhsa_uses_dynamic_stack 0
		.amdhsa_system_sgpr_private_segment_wavefront_offset 0
		.amdhsa_system_sgpr_workgroup_id_x 1
		.amdhsa_system_sgpr_workgroup_id_y 1
		.amdhsa_system_sgpr_workgroup_id_z 1
		.amdhsa_system_sgpr_workgroup_info 0
		.amdhsa_system_vgpr_workitem_id 0
		.amdhsa_next_free_vgpr 23
		.amdhsa_next_free_sgpr 37
		.amdhsa_accum_offset 24
		.amdhsa_reserve_vcc 1
		.amdhsa_reserve_flat_scratch 0
		.amdhsa_float_round_mode_32 0
		.amdhsa_float_round_mode_16_64 0
		.amdhsa_float_denorm_mode_32 3
		.amdhsa_float_denorm_mode_16_64 3
		.amdhsa_dx10_clamp 1
		.amdhsa_ieee_mode 1
		.amdhsa_fp16_overflow 0
		.amdhsa_tg_split 0
		.amdhsa_exception_fp_ieee_invalid_op 0
		.amdhsa_exception_fp_denorm_src 0
		.amdhsa_exception_fp_ieee_div_zero 0
		.amdhsa_exception_fp_ieee_overflow 0
		.amdhsa_exception_fp_ieee_underflow 0
		.amdhsa_exception_fp_ieee_inexact 0
		.amdhsa_exception_int_div_zero 0
	.end_amdhsa_kernel
	.section	.text._ZL16dequantize_blockILi32ELi2EXadL_ZL15dequantize_q5_1PKvliR15HIP_vector_typeIfLj2EEEE14__hip_bfloat16EvS1_PT2_lllS2_IjLj3EElll,"axG",@progbits,_ZL16dequantize_blockILi32ELi2EXadL_ZL15dequantize_q5_1PKvliR15HIP_vector_typeIfLj2EEEE14__hip_bfloat16EvS1_PT2_lllS2_IjLj3EElll,comdat
.Lfunc_end51:
	.size	_ZL16dequantize_blockILi32ELi2EXadL_ZL15dequantize_q5_1PKvliR15HIP_vector_typeIfLj2EEEE14__hip_bfloat16EvS1_PT2_lllS2_IjLj3EElll, .Lfunc_end51-_ZL16dequantize_blockILi32ELi2EXadL_ZL15dequantize_q5_1PKvliR15HIP_vector_typeIfLj2EEEE14__hip_bfloat16EvS1_PT2_lllS2_IjLj3EElll
                                        ; -- End function
	.section	.AMDGPU.csdata,"",@progbits
; Kernel info:
; codeLenInByte = 956
; NumSgprs: 41
; NumVgprs: 23
; NumAgprs: 0
; TotalNumVgprs: 23
; ScratchSize: 0
; MemoryBound: 0
; FloatMode: 240
; IeeeMode: 1
; LDSByteSize: 0 bytes/workgroup (compile time only)
; SGPRBlocks: 5
; VGPRBlocks: 2
; NumSGPRsForWavesPerEU: 41
; NumVGPRsForWavesPerEU: 23
; AccumOffset: 24
; Occupancy: 8
; WaveLimiterHint : 0
; COMPUTE_PGM_RSRC2:SCRATCH_EN: 0
; COMPUTE_PGM_RSRC2:USER_SGPR: 6
; COMPUTE_PGM_RSRC2:TRAP_HANDLER: 0
; COMPUTE_PGM_RSRC2:TGID_X_EN: 1
; COMPUTE_PGM_RSRC2:TGID_Y_EN: 1
; COMPUTE_PGM_RSRC2:TGID_Z_EN: 1
; COMPUTE_PGM_RSRC2:TIDIG_COMP_CNT: 0
; COMPUTE_PGM_RSRC3_GFX90A:ACCUM_OFFSET: 5
; COMPUTE_PGM_RSRC3_GFX90A:TG_SPLIT: 0
	.section	.text._ZL16dequantize_blockILi32ELi1EXadL_ZL15dequantize_q8_0PKvliR15HIP_vector_typeIfLj2EEEE14__hip_bfloat16EvS1_PT2_lllS2_IjLj3EElll,"axG",@progbits,_ZL16dequantize_blockILi32ELi1EXadL_ZL15dequantize_q8_0PKvliR15HIP_vector_typeIfLj2EEEE14__hip_bfloat16EvS1_PT2_lllS2_IjLj3EElll,comdat
	.globl	_ZL16dequantize_blockILi32ELi1EXadL_ZL15dequantize_q8_0PKvliR15HIP_vector_typeIfLj2EEEE14__hip_bfloat16EvS1_PT2_lllS2_IjLj3EElll ; -- Begin function _ZL16dequantize_blockILi32ELi1EXadL_ZL15dequantize_q8_0PKvliR15HIP_vector_typeIfLj2EEEE14__hip_bfloat16EvS1_PT2_lllS2_IjLj3EElll
	.p2align	8
	.type	_ZL16dequantize_blockILi32ELi1EXadL_ZL15dequantize_q8_0PKvliR15HIP_vector_typeIfLj2EEEE14__hip_bfloat16EvS1_PT2_lllS2_IjLj3EElll,@function
_ZL16dequantize_blockILi32ELi1EXadL_ZL15dequantize_q8_0PKvliR15HIP_vector_typeIfLj2EEEE14__hip_bfloat16EvS1_PT2_lllS2_IjLj3EElll: ; @_ZL16dequantize_blockILi32ELi1EXadL_ZL15dequantize_q8_0PKvliR15HIP_vector_typeIfLj2EEEE14__hip_bfloat16EvS1_PT2_lllS2_IjLj3EElll
; %bb.0:
	s_mov_b32 s10, s7
	s_load_dword s7, s[4:5], 0x5c
	s_load_dwordx4 s[0:3], s[4:5], 0x10
	s_add_u32 s24, s4, 0x50
	s_addc_u32 s25, s5, 0
	v_mov_b32_e32 v1, 0
	s_waitcnt lgkmcnt(0)
	s_and_b32 s9, s7, 0xffff
	v_mov_b32_e32 v2, s6
	v_mad_u64_u32 v[2:3], s[12:13], s9, v2, v[0:1]
	v_lshlrev_b64 v[4:5], 1, v[2:3]
	v_cmp_gt_i64_e32 vcc, s[0:1], v[4:5]
	s_and_saveexec_b64 s[12:13], vcc
	s_cbranch_execz .LBB52_15
; %bb.1:
	s_load_dwordx2 s[28:29], s[4:5], 0x20
	s_mov_b32 s11, 0
	v_pk_mov_b32 v[6:7], s[2:3], s[2:3] op_sel:[0,1]
	v_cmp_ge_i64_e32 vcc, s[10:11], v[6:7]
	s_cbranch_vccnz .LBB52_15
; %bb.2:
	s_load_dwordx4 s[20:23], s[4:5], 0x0
	s_load_dwordx8 s[12:19], s[4:5], 0x28
	s_load_dwordx2 s[26:27], s[4:5], 0x48
	s_mul_i32 s4, s3, s8
	s_mul_hi_u32 s5, s2, s8
	s_add_i32 s5, s5, s4
	s_mul_i32 s4, s2, s8
	s_add_u32 s4, s4, s10
	s_addc_u32 s5, s5, 0
	s_mul_i32 s5, s0, s5
	s_waitcnt lgkmcnt(0)
	s_mul_hi_u32 s15, s0, s4
	s_add_i32 s5, s15, s5
	s_mul_i32 s15, s1, s4
	v_lshrrev_b64 v[2:3], 4, v[2:3]
	s_add_i32 s5, s5, s15
	s_mul_i32 s4, s0, s4
	s_lshl_b64 s[4:5], s[4:5], 1
	v_lshlrev_b64 v[8:9], 6, v[2:3]
	v_mov_b32_e32 v1, s5
	v_add_co_u32_e32 v8, vcc, s4, v8
	v_addc_co_u32_e32 v1, vcc, v1, v9, vcc
	v_mov_b32_e32 v9, s7
	s_load_dword s30, s[24:25], 0x4
	v_mad_legacy_u16 v0, s6, v9, v0
	v_and_b32_e32 v0, 15, v0
	v_lshlrev_b32_e32 v0, 2, v0
	v_add_co_u32_e32 v0, vcc, v8, v0
	v_addc_co_u32_e32 v1, vcc, 0, v1, vcc
	v_mov_b32_e32 v8, s23
	v_add_co_u32_e32 v0, vcc, s22, v0
	s_waitcnt lgkmcnt(0)
	s_mul_i32 s4, s1, s30
	s_mul_hi_u32 s5, s0, s30
	s_mul_i32 s1, s2, s1
	s_mul_hi_u32 s6, s2, s0
	v_addc_co_u32_e32 v1, vcc, v1, v8, vcc
	s_add_i32 s5, s5, s4
	s_mul_i32 s4, s0, s30
	s_add_i32 s1, s6, s1
	s_mul_i32 s6, s3, s0
	s_mov_b32 s9, s11
	v_pk_mov_b32 v[6:7], s[28:29], s[28:29] op_sel:[0,1]
	v_add_co_u32_e32 v0, vcc, 2, v0
	s_lshl_b64 s[4:5], s[4:5], 1
	s_add_i32 s1, s1, s6
	s_mul_i32 s0, s2, s0
	v_and_b32_e32 v4, 30, v4
	v_mov_b32_e32 v5, 0
	v_addc_co_u32_e32 v1, vcc, 0, v1, vcc
	s_lshl_b64 s[6:7], s[0:1], 1
	s_sub_i32 s22, 0, s14
	v_cmp_lt_i64_e64 s[0:1], s[8:9], v[6:7]
	s_mov_b32 s23, 0x7f800000
	s_movk_i32 s31, 0x7fff
	v_mov_b32_e32 v12, s5
	v_pk_mov_b32 v[8:9], s[2:3], s[2:3] op_sel:[0,1]
	s_branch .LBB52_4
.LBB52_3:                               ;   in Loop: Header=BB52_4 Depth=1
	s_add_u32 s10, s10, s30
	v_add_co_u32_e32 v0, vcc, s4, v0
	s_addc_u32 s11, s11, 0
	v_addc_co_u32_e32 v1, vcc, v1, v12, vcc
	v_cmp_ge_i64_e32 vcc, s[10:11], v[8:9]
	s_cbranch_vccnz .LBB52_15
.LBB52_4:                               ; =>This Loop Header: Depth=1
                                        ;     Child Loop BB52_7 Depth 2
	s_andn2_b64 vcc, exec, s[0:1]
	s_cbranch_vccnz .LBB52_3
; %bb.5:                                ;   in Loop: Header=BB52_4 Depth=1
	s_load_dword s5, s[24:25], 0x8
	s_mul_i32 s2, s10, s17
	s_mul_hi_u32 s3, s10, s16
	s_add_i32 s2, s3, s2
	s_mul_i32 s3, s11, s16
	s_add_i32 s28, s2, s3
	s_waitcnt lgkmcnt(0)
	s_mul_i32 s2, s7, s5
	s_mul_hi_u32 s3, s6, s5
	s_add_i32 s2, s3, s2
	s_mul_i32 s29, s10, s16
	s_mul_i32 s33, s6, s5
	v_mov_b32_e32 v13, s2
	v_pk_mov_b32 v[10:11], v[0:1], v[0:1] op_sel:[0,1]
	s_mov_b64 s[2:3], s[8:9]
	s_branch .LBB52_7
.LBB52_6:                               ;   in Loop: Header=BB52_7 Depth=2
	s_or_b64 exec, exec, s[14:15]
	global_store_short_d16_hi v[10:11], v15, off
	s_add_u32 s2, s2, s5
	v_add_co_u32_e32 v10, vcc, s33, v10
	s_addc_u32 s3, s3, 0
	v_addc_co_u32_e32 v11, vcc, v11, v13, vcc
	v_cmp_ge_i64_e32 vcc, s[2:3], v[6:7]
	s_cbranch_vccnz .LBB52_3
.LBB52_7:                               ;   Parent Loop BB52_4 Depth=1
                                        ; =>  This Inner Loop Header: Depth=2
	s_mul_hi_u32 s14, s12, s2
	s_add_i32 s14, s2, s14
	s_lshr_b32 s14, s14, s13
	s_mul_i32 s15, s22, s14
	s_add_i32 s15, s2, s15
	s_mul_i32 s34, s14, s27
	s_mul_hi_u32 s35, s14, s26
	s_add_i32 s34, s35, s34
	s_mul_i32 s14, s14, s26
	s_mul_i32 s35, s15, s19
	s_mul_hi_u32 s36, s15, s18
	s_add_i32 s35, s36, s35
	s_mul_i32 s34, s34, 34
	s_mul_hi_u32 s36, s14, 34
	s_add_i32 s36, s36, s34
	s_mul_i32 s14, s14, 34
	s_mul_i32 s15, s15, s18
	s_add_u32 s14, s20, s14
	s_addc_u32 s34, s21, s36
	s_mul_i32 s35, s35, 34
	s_mul_hi_u32 s36, s15, 34
	s_add_i32 s36, s36, s35
	s_mul_i32 s15, s15, 34
	s_add_u32 s14, s14, s15
	s_addc_u32 s15, s34, s36
	s_mul_i32 s34, s28, 34
	s_mul_hi_u32 s35, s29, 34
	s_add_i32 s35, s35, s34
	s_mul_i32 s34, s29, 34
	s_add_u32 s14, s14, s34
	s_addc_u32 s15, s15, s35
	v_mad_u64_u32 v[14:15], s[14:15], v2, 34, s[14:15]
	v_mov_b32_e32 v16, v15
	v_mad_u64_u32 v[16:17], s[14:15], v3, 34, v[16:17]
	v_mov_b32_e32 v15, v16
	v_add_co_u32_e32 v16, vcc, v14, v4
	global_load_ushort v18, v[14:15], off
	v_addc_co_u32_e32 v17, vcc, 0, v15, vcc
	global_load_sbyte v19, v[16:17], off offset:2
	global_load_ubyte v15, v[16:17], off offset:3
	s_waitcnt vmcnt(2)
	v_cvt_f32_f16_e32 v14, v18
	s_waitcnt vmcnt(1)
	v_cvt_f32_i32_e32 v16, v19
	v_mul_f32_e32 v17, v14, v16
	v_and_b32_e32 v16, 0x7f800000, v17
	v_cmp_ne_u32_e32 vcc, s23, v16
                                        ; implicit-def: $vgpr16
	s_and_saveexec_b64 s[14:15], vcc
	s_xor_b64 s[14:15], exec, s[14:15]
; %bb.8:                                ;   in Loop: Header=BB52_7 Depth=2
	v_bfe_u32 v16, v17, 16, 1
	v_add3_u32 v16, v17, v16, s31
                                        ; implicit-def: $vgpr17
; %bb.9:                                ;   in Loop: Header=BB52_7 Depth=2
	s_andn2_saveexec_b64 s[14:15], s[14:15]
; %bb.10:                               ;   in Loop: Header=BB52_7 Depth=2
	v_or_b32_e32 v16, 0x10000, v17
	v_cmp_eq_u32_sdwa vcc, v17, v5 src0_sel:WORD_0 src1_sel:DWORD
	v_cndmask_b32_e32 v16, v16, v17, vcc
; %bb.11:                               ;   in Loop: Header=BB52_7 Depth=2
	s_or_b64 exec, exec, s[14:15]
	s_waitcnt vmcnt(0)
	v_bfe_i32 v15, v15, 0, 8
	v_cvt_f32_i32_sdwa v15, sext(v15) dst_sel:DWORD dst_unused:UNUSED_PAD src0_sel:WORD_0
	global_store_short_d16_hi v[10:11], v16, off offset:-2
	v_mul_f32_e32 v14, v14, v15
	v_and_b32_e32 v15, 0x7f800000, v14
	v_cmp_ne_u32_e32 vcc, s23, v15
                                        ; implicit-def: $vgpr15
	s_and_saveexec_b64 s[14:15], vcc
	s_xor_b64 s[14:15], exec, s[14:15]
; %bb.12:                               ;   in Loop: Header=BB52_7 Depth=2
	v_bfe_u32 v15, v14, 16, 1
	v_add3_u32 v15, v14, v15, s31
                                        ; implicit-def: $vgpr14
; %bb.13:                               ;   in Loop: Header=BB52_7 Depth=2
	s_andn2_saveexec_b64 s[14:15], s[14:15]
	s_cbranch_execz .LBB52_6
; %bb.14:                               ;   in Loop: Header=BB52_7 Depth=2
	v_or_b32_e32 v15, 0x10000, v14
	v_cmp_eq_u32_sdwa vcc, v14, v5 src0_sel:WORD_0 src1_sel:DWORD
	v_cndmask_b32_e32 v15, v15, v14, vcc
	s_branch .LBB52_6
.LBB52_15:
	s_endpgm
	.section	.rodata,"a",@progbits
	.p2align	6, 0x0
	.amdhsa_kernel _ZL16dequantize_blockILi32ELi1EXadL_ZL15dequantize_q8_0PKvliR15HIP_vector_typeIfLj2EEEE14__hip_bfloat16EvS1_PT2_lllS2_IjLj3EElll
		.amdhsa_group_segment_fixed_size 0
		.amdhsa_private_segment_fixed_size 0
		.amdhsa_kernarg_size 336
		.amdhsa_user_sgpr_count 6
		.amdhsa_user_sgpr_private_segment_buffer 1
		.amdhsa_user_sgpr_dispatch_ptr 0
		.amdhsa_user_sgpr_queue_ptr 0
		.amdhsa_user_sgpr_kernarg_segment_ptr 1
		.amdhsa_user_sgpr_dispatch_id 0
		.amdhsa_user_sgpr_flat_scratch_init 0
		.amdhsa_user_sgpr_kernarg_preload_length 0
		.amdhsa_user_sgpr_kernarg_preload_offset 0
		.amdhsa_user_sgpr_private_segment_size 0
		.amdhsa_uses_dynamic_stack 0
		.amdhsa_system_sgpr_private_segment_wavefront_offset 0
		.amdhsa_system_sgpr_workgroup_id_x 1
		.amdhsa_system_sgpr_workgroup_id_y 1
		.amdhsa_system_sgpr_workgroup_id_z 1
		.amdhsa_system_sgpr_workgroup_info 0
		.amdhsa_system_vgpr_workitem_id 0
		.amdhsa_next_free_vgpr 20
		.amdhsa_next_free_sgpr 37
		.amdhsa_accum_offset 20
		.amdhsa_reserve_vcc 1
		.amdhsa_reserve_flat_scratch 0
		.amdhsa_float_round_mode_32 0
		.amdhsa_float_round_mode_16_64 0
		.amdhsa_float_denorm_mode_32 3
		.amdhsa_float_denorm_mode_16_64 3
		.amdhsa_dx10_clamp 1
		.amdhsa_ieee_mode 1
		.amdhsa_fp16_overflow 0
		.amdhsa_tg_split 0
		.amdhsa_exception_fp_ieee_invalid_op 0
		.amdhsa_exception_fp_denorm_src 0
		.amdhsa_exception_fp_ieee_div_zero 0
		.amdhsa_exception_fp_ieee_overflow 0
		.amdhsa_exception_fp_ieee_underflow 0
		.amdhsa_exception_fp_ieee_inexact 0
		.amdhsa_exception_int_div_zero 0
	.end_amdhsa_kernel
	.section	.text._ZL16dequantize_blockILi32ELi1EXadL_ZL15dequantize_q8_0PKvliR15HIP_vector_typeIfLj2EEEE14__hip_bfloat16EvS1_PT2_lllS2_IjLj3EElll,"axG",@progbits,_ZL16dequantize_blockILi32ELi1EXadL_ZL15dequantize_q8_0PKvliR15HIP_vector_typeIfLj2EEEE14__hip_bfloat16EvS1_PT2_lllS2_IjLj3EElll,comdat
.Lfunc_end52:
	.size	_ZL16dequantize_blockILi32ELi1EXadL_ZL15dequantize_q8_0PKvliR15HIP_vector_typeIfLj2EEEE14__hip_bfloat16EvS1_PT2_lllS2_IjLj3EElll, .Lfunc_end52-_ZL16dequantize_blockILi32ELi1EXadL_ZL15dequantize_q8_0PKvliR15HIP_vector_typeIfLj2EEEE14__hip_bfloat16EvS1_PT2_lllS2_IjLj3EElll
                                        ; -- End function
	.section	.AMDGPU.csdata,"",@progbits
; Kernel info:
; codeLenInByte = 892
; NumSgprs: 41
; NumVgprs: 20
; NumAgprs: 0
; TotalNumVgprs: 20
; ScratchSize: 0
; MemoryBound: 0
; FloatMode: 240
; IeeeMode: 1
; LDSByteSize: 0 bytes/workgroup (compile time only)
; SGPRBlocks: 5
; VGPRBlocks: 2
; NumSGPRsForWavesPerEU: 41
; NumVGPRsForWavesPerEU: 20
; AccumOffset: 20
; Occupancy: 8
; WaveLimiterHint : 0
; COMPUTE_PGM_RSRC2:SCRATCH_EN: 0
; COMPUTE_PGM_RSRC2:USER_SGPR: 6
; COMPUTE_PGM_RSRC2:TRAP_HANDLER: 0
; COMPUTE_PGM_RSRC2:TGID_X_EN: 1
; COMPUTE_PGM_RSRC2:TGID_Y_EN: 1
; COMPUTE_PGM_RSRC2:TGID_Z_EN: 1
; COMPUTE_PGM_RSRC2:TIDIG_COMP_CNT: 0
; COMPUTE_PGM_RSRC3_GFX90A:ACCUM_OFFSET: 4
; COMPUTE_PGM_RSRC3_GFX90A:TG_SPLIT: 0
	.section	.text._ZL13convert_unaryI6__half14__hip_bfloat16EvPKvPT0_lll15HIP_vector_typeIjLj3EElll,"axG",@progbits,_ZL13convert_unaryI6__half14__hip_bfloat16EvPKvPT0_lll15HIP_vector_typeIjLj3EElll,comdat
	.globl	_ZL13convert_unaryI6__half14__hip_bfloat16EvPKvPT0_lll15HIP_vector_typeIjLj3EElll ; -- Begin function _ZL13convert_unaryI6__half14__hip_bfloat16EvPKvPT0_lll15HIP_vector_typeIjLj3EElll
	.p2align	8
	.type	_ZL13convert_unaryI6__half14__hip_bfloat16EvPKvPT0_lll15HIP_vector_typeIjLj3EElll,@function
_ZL13convert_unaryI6__half14__hip_bfloat16EvPKvPT0_lll15HIP_vector_typeIjLj3EElll: ; @_ZL13convert_unaryI6__half14__hip_bfloat16EvPKvPT0_lll15HIP_vector_typeIjLj3EElll
; %bb.0:
	s_load_dword s0, s[4:5], 0x5c
	s_load_dwordx4 s[36:39], s[4:5], 0x10
	s_add_u32 s30, s4, 0x50
	s_addc_u32 s31, s5, 0
	v_mov_b32_e32 v1, 0
	s_waitcnt lgkmcnt(0)
	s_and_b32 s0, s0, 0xffff
	v_mov_b32_e32 v2, s6
	v_mad_u64_u32 v[0:1], s[0:1], s0, v2, v[0:1]
	v_cmp_gt_i64_e32 vcc, s[36:37], v[0:1]
	s_and_saveexec_b64 s[0:1], vcc
	s_cbranch_execz .LBB53_20
; %bb.1:
	s_load_dwordx2 s[40:41], s[4:5], 0x20
	s_mov_b32 s10, s7
	s_mov_b32 s11, 0
	v_pk_mov_b32 v[2:3], s[38:39], s[38:39] op_sel:[0,1]
	v_cmp_ge_i64_e32 vcc, s[10:11], v[2:3]
	s_cbranch_vccnz .LBB53_20
; %bb.2:
	s_mov_b32 s0, s8
                                        ; implicit-def: $vgpr26 : SGPR spill to VGPR lane
	s_mov_b32 s28, s8
	v_writelane_b32 v26, s0, 0
	s_mov_b32 s0, s11
	v_writelane_b32 v26, s0, 1
	;; [unrolled: 2-line block ×3, first 2 shown]
	s_mov_b32 s29, s11
	s_waitcnt lgkmcnt(0)
	v_pk_mov_b32 v[4:5], s[40:41], s[40:41] op_sel:[0,1]
	v_writelane_b32 v26, s0, 3
	s_mul_i32 s0, s38, s37
	s_mul_hi_u32 s1, s38, s36
	s_add_i32 s0, s1, s0
	v_cmp_lt_i64_e64 s[2:3], s[28:29], v[4:5]
	s_mul_i32 s1, s39, s36
	v_writelane_b32 v26, s2, 4
	s_add_i32 s1, s0, s1
	s_mul_i32 s0, s38, s36
	v_writelane_b32 v26, s3, 5
	s_lshl_b64 s[0:1], s[0:1], 1
	v_writelane_b32 v26, s0, 6
	v_writelane_b32 v26, s1, 7
	s_lshl_b64 s[0:1], s[36:37], 1
	v_writelane_b32 v26, s0, 8
	v_writelane_b32 v26, s1, 9
	;; [unrolled: 1-line block ×4, first 2 shown]
	s_mov_b32 s78, s38
	s_mov_b32 s47, s39
	;; [unrolled: 1-line block ×16, first 2 shown]
	v_pk_mov_b32 v[6:7], s[38:39], s[38:39] op_sel:[0,1]
	v_writelane_b32 v26, s36, 12
	v_writelane_b32 v26, s37, 13
	;; [unrolled: 1-line block ×3, first 2 shown]
	s_load_dwordx4 s[24:27], s[4:5], 0x0
	s_load_dwordx8 s[12:19], s[4:5], 0x28
	s_load_dwordx2 s[34:35], s[4:5], 0x48
	s_load_dword s23, s[30:31], 0x4
	v_writelane_b32 v26, s39, 15
	v_writelane_b32 v26, s30, 16
	;; [unrolled: 1-line block ×4, first 2 shown]
	v_lshlrev_b64 v[0:1], 1, v[0:1]
	v_writelane_b32 v26, s41, 19
	s_waitcnt lgkmcnt(0)
	v_add_co_u32_e32 v2, vcc, s26, v0
	s_sub_i32 s26, 0, s14
	v_writelane_b32 v26, s23, 20
	v_writelane_b32 v26, s26, 21
	v_mov_b32_e32 v3, s27
	v_writelane_b32 v26, s72, 22
	v_addc_co_u32_e32 v3, vcc, v3, v1, vcc
	s_mov_b32 s46, s12
	s_mov_b32 s53, s12
	;; [unrolled: 1-line block ×26, first 2 shown]
	v_mov_b32_e32 v10, 0x4f800000
	v_mov_b32_e32 v11, 0
	s_mov_b32 s95, 0x7f800000
	s_movk_i32 s50, 0x7fff
	s_mov_b64 s[20:21], s[10:11]
	v_writelane_b32 v26, s83, 23
	v_writelane_b32 v26, s81, 24
	s_branch .LBB53_4
.LBB53_3:                               ;   in Loop: Header=BB53_4 Depth=1
	s_add_u32 s20, s20, s23
	s_addc_u32 s21, s21, 0
	v_cmp_ge_i64_e32 vcc, s[20:21], v[6:7]
	s_cbranch_vccnz .LBB53_20
.LBB53_4:                               ; =>This Loop Header: Depth=1
                                        ;     Child Loop BB53_10 Depth 2
                                        ;     Child Loop BB53_15 Depth 2
	v_readlane_b32 s0, v26, 4
	v_readlane_b32 s1, v26, 5
	s_andn2_b64 vcc, exec, s[0:1]
	s_cbranch_vccnz .LBB53_3
; %bb.5:                                ;   in Loop: Header=BB53_4 Depth=1
	s_load_dword s10, s[30:31], 0x8
	v_pk_mov_b32 v[8:9], s[40:41], s[40:41] op_sel:[0,1]
	s_waitcnt lgkmcnt(0)
	s_add_u32 s0, s28, s10
	s_addc_u32 s1, 0, 0
	v_pk_mov_b32 v[12:13], s[0:1], s[0:1] op_sel:[0,1]
	v_cmp_lt_i64_e64 s[2:3], s[0:1], v[8:9]
	v_cmp_gt_i64_e32 vcc, s[40:41], v[12:13]
	v_cndmask_b32_e64 v8, 0, 1, s[2:3]
	s_and_b64 s[4:5], vcc, exec
	s_cselect_b32 s5, s40, s0
	v_readfirstlane_b32 s6, v8
	s_cselect_b32 s4, s41, s1
	s_sub_u32 s5, s5, s6
	s_subb_u32 s4, s4, 0
	s_sub_u32 s0, s5, s0
	s_subb_u32 s5, s4, s1
	s_mov_b32 s4, s11
	s_cmp_lg_u64 s[4:5], 0
	s_cbranch_scc0 .LBB53_19
; %bb.6:                                ;   in Loop: Header=BB53_4 Depth=1
	v_cvt_f32_u32_e32 v8, s10
	s_sub_u32 s1, 0, s10
	s_subb_u32 s4, 0, 0
	v_mac_f32_e32 v8, 0, v10
	v_rcp_f32_e32 v8, v8
	v_mul_f32_e32 v8, 0x5f7ffffc, v8
	v_mul_f32_e32 v9, 0x2f800000, v8
	v_trunc_f32_e32 v9, v9
	v_mac_f32_e32 v8, 0xcf800000, v9
	v_cvt_u32_f32_e32 v9, v9
	v_cvt_u32_f32_e32 v8, v8
	v_readfirstlane_b32 s6, v9
	v_readfirstlane_b32 s7, v8
	s_mul_i32 s8, s1, s6
	s_mul_hi_u32 s14, s1, s7
	s_mul_i32 s9, s4, s7
	s_add_i32 s8, s14, s8
	s_mul_i32 s15, s1, s7
	s_add_i32 s8, s8, s9
	s_mul_hi_u32 s14, s7, s15
	s_mul_hi_u32 s9, s7, s8
	s_mul_i32 s7, s7, s8
	s_add_u32 s7, s14, s7
	s_addc_u32 s9, 0, s9
	s_mul_hi_u32 s22, s6, s15
	s_mul_i32 s15, s6, s15
	s_add_u32 s7, s7, s15
	s_mul_hi_u32 s14, s6, s8
	s_addc_u32 s7, s9, s22
	s_addc_u32 s9, s14, 0
	s_mul_i32 s8, s6, s8
	s_add_u32 s7, s7, s8
	s_addc_u32 s8, 0, s9
	v_add_co_u32_e32 v8, vcc, s7, v8
	s_cmp_lg_u64 vcc, 0
	s_addc_u32 s6, s6, s8
	v_readfirstlane_b32 s8, v8
	s_mul_i32 s7, s1, s6
	s_mul_hi_u32 s9, s1, s8
	s_add_i32 s7, s9, s7
	s_mul_i32 s4, s4, s8
	s_add_i32 s7, s7, s4
	s_mul_i32 s1, s1, s8
	s_mul_hi_u32 s9, s6, s1
	s_mul_i32 s14, s6, s1
	s_mul_i32 s22, s8, s7
	s_mul_hi_u32 s1, s8, s1
	s_mul_hi_u32 s15, s8, s7
	s_add_u32 s1, s1, s22
	s_addc_u32 s8, 0, s15
	s_add_u32 s1, s1, s14
	s_mul_hi_u32 s4, s6, s7
	s_addc_u32 s1, s8, s9
	s_addc_u32 s4, s4, 0
	s_mul_i32 s7, s6, s7
	s_add_u32 s1, s1, s7
	s_addc_u32 s4, 0, s4
	v_add_co_u32_e32 v8, vcc, s1, v8
	s_cmp_lg_u64 vcc, 0
	s_addc_u32 s1, s6, s4
	v_readfirstlane_b32 s7, v8
	s_mul_i32 s6, s0, s1
	s_mul_hi_u32 s8, s0, s7
	s_mul_hi_u32 s4, s0, s1
	s_add_u32 s6, s8, s6
	s_addc_u32 s4, 0, s4
	s_mul_hi_u32 s9, s5, s7
	s_mul_i32 s7, s5, s7
	s_add_u32 s6, s6, s7
	s_mul_hi_u32 s8, s5, s1
	s_addc_u32 s4, s4, s9
	s_addc_u32 s6, s8, 0
	s_mul_i32 s1, s5, s1
	s_add_u32 s1, s4, s1
	s_addc_u32 s4, 0, s6
	s_add_u32 s6, s1, 1
	s_addc_u32 s7, s4, 0
	s_add_u32 s8, s1, 2
	s_mul_i32 s14, s10, s4
	s_mul_hi_u32 s15, s10, s1
	s_addc_u32 s9, s4, 0
	s_add_i32 s15, s15, s14
	s_mul_i32 s14, s10, s1
	v_mov_b32_e32 v8, s14
	v_sub_co_u32_e32 v8, vcc, s0, v8
	s_cmp_lg_u64 vcc, 0
	s_subb_u32 s5, s5, s15
	v_subrev_co_u32_e32 v9, vcc, s10, v8
	s_cmp_lg_u64 vcc, 0
	s_subb_u32 s14, s5, 0
	v_readfirstlane_b32 s15, v9
	s_cmp_ge_u32 s15, s10
	s_cselect_b32 s15, -1, 0
	s_cmp_eq_u32 s14, 0
	s_cselect_b32 s14, s15, -1
	s_cmp_lg_u32 s14, 0
	s_cselect_b32 s6, s8, s6
	v_readfirstlane_b32 s8, v8
	s_cselect_b32 s7, s9, s7
	s_cmp_ge_u32 s8, s10
	s_cselect_b32 s8, -1, 0
	s_cmp_eq_u32 s5, 0
	s_cselect_b32 s5, s8, -1
	s_cmp_lg_u32 s5, 0
	s_cselect_b32 s5, s7, s4
	s_cselect_b32 s4, s6, s1
	s_cbranch_execnz .LBB53_8
.LBB53_7:                               ;   in Loop: Header=BB53_4 Depth=1
	v_cvt_f32_u32_e32 v8, s10
	s_sub_i32 s1, 0, s10
	v_rcp_iflag_f32_e32 v8, v8
	v_mul_f32_e32 v8, 0x4f7ffffe, v8
	v_cvt_u32_f32_e32 v8, v8
	v_readfirstlane_b32 s4, v8
	s_mul_i32 s1, s1, s4
	s_mul_hi_u32 s1, s4, s1
	s_add_i32 s4, s4, s1
	s_mul_hi_u32 s1, s0, s4
	s_mul_i32 s5, s1, s10
	s_sub_i32 s0, s0, s5
	s_add_i32 s4, s1, 1
	s_sub_i32 s5, s0, s10
	s_cmp_ge_u32 s0, s10
	s_cselect_b32 s1, s4, s1
	s_cselect_b32 s0, s5, s0
	s_add_i32 s4, s1, 1
	s_cmp_ge_u32 s0, s10
	s_cselect_b32 s4, s4, s1
	s_mov_b32 s5, s11
.LBB53_8:                               ;   in Loop: Header=BB53_4 Depth=1
	s_mul_i32 s0, s20, s17
	s_mul_hi_u32 s1, s20, s16
	s_add_i32 s0, s1, s0
	s_mul_i32 s1, s21, s16
	s_add_i32 s37, s0, s1
	s_and_b64 s[0:1], s[2:3], exec
	s_cselect_b32 s0, 2, 1
	s_add_u32 s6, s0, s4
	s_addc_u32 s7, 0, s5
	v_cmp_gt_u64_e64 s[0:1], s[6:7], 3
	s_mul_i32 s36, s20, s16
	s_mov_b64 s[4:5], -1
	s_and_b64 vcc, exec, s[0:1]
	s_mov_b64 s[2:3], s[28:29]
	s_cbranch_vccz .LBB53_12
; %bb.9:                                ;   in Loop: Header=BB53_4 Depth=1
	s_and_b32 s44, s6, -4
	v_writelane_b32 v26, s6, 25
	v_writelane_b32 v26, s7, 26
	s_lshl_b64 s[0:1], s[10:11], 1
	v_readlane_b32 s4, v26, 2
	s_add_u32 s51, s4, s0
	s_mul_i32 s3, s10, 3
	s_addc_u32 s48, 0, s1
	v_readlane_b32 s0, v26, 3
	s_mul_hi_u32 s2, s10, 3
	s_add_u32 s49, s0, s3
	s_addc_u32 s33, 0, s2
	s_add_u32 s26, s28, s10
	s_addc_u32 s27, 0, 0
	v_readlane_b32 s28, v26, 0
	v_readlane_b32 s29, v26, 1
	v_writelane_b32 v26, s10, 27
	s_lshl_b64 s[42:43], s[10:11], 2
	v_writelane_b32 v26, s11, 28
	s_mov_b32 s0, s42
	v_writelane_b32 v26, s0, 29
	s_mov_b32 s0, s43
	v_writelane_b32 v26, s0, 30
	s_mov_b32 s0, s42
	v_writelane_b32 v26, s0, 31
	s_mov_b32 s0, s43
	v_writelane_b32 v26, s0, 32
	s_mov_b32 s0, s42
	v_writelane_b32 v26, s0, 33
	s_mov_b32 s0, s43
	v_writelane_b32 v26, s0, 34
	s_mov_b32 s0, s20
	v_writelane_b32 v26, s0, 35
	s_mov_b32 s0, s21
	v_writelane_b32 v26, s0, 36
	s_mov_b32 s0, s20
	v_writelane_b32 v26, s0, 37
	s_mov_b32 s0, s21
	v_writelane_b32 v26, s0, 38
	s_mov_b32 s0, s20
	v_writelane_b32 v26, s0, 39
	s_mov_b32 s0, s21
	s_mov_b32 s45, s7
	v_writelane_b32 v26, s0, 40
	v_writelane_b32 v26, s44, 41
	;; [unrolled: 1-line block ×3, first 2 shown]
.LBB53_10:                              ;   Parent Loop BB53_4 Depth=1
                                        ; =>  This Inner Loop Header: Depth=2
	s_mul_hi_u32 s2, s28, s46
	s_mul_i32 s5, s51, s77
	s_mul_hi_u32 s6, s51, s82
	s_mul_i32 s3, s49, s79
	;; [unrolled: 2-line block ×3, first 2 shown]
	s_mul_hi_u32 s14, s26, s80
	s_add_i32 s5, s6, s5
	s_mul_hi_u32 s6, s51, s54
	s_add_i32 s2, s2, s28
	s_mul_i32 s15, s28, s47
	s_mul_hi_u32 s38, s28, s78
	s_mul_i32 s39, s33, s84
	s_mov_b32 s41, s77
	s_mov_b32 s77, s46
	s_mul_i32 s46, s48, s82
	s_mov_b32 s1, s47
	s_mul_i32 s47, s27, s80
	s_add_i32 s3, s4, s3
	s_mul_hi_u32 s4, s49, s55
	s_add_i32 s7, s14, s7
	s_add_i32 s6, s6, s51
	s_lshr_b32 s2, s2, s85
	s_add_i32 s15, s38, s15
	s_add_i32 s4, s4, s49
	;; [unrolled: 1-line block ×5, first 2 shown]
	s_lshr_b32 s39, s6, s58
	s_mul_i32 s7, s35, s2
	s_mul_hi_u32 s46, s34, s2
	s_mul_i32 s6, s34, s2
	s_mul_i32 s2, s2, s60
	s_mov_b32 s40, s52
	s_mul_i32 s52, s29, s78
	s_mul_hi_u32 s14, s26, s53
	s_lshr_b32 s4, s4, s59
	s_sub_i32 s2, s28, s2
	s_add_i32 s14, s14, s26
	s_add_i32 s15, s15, s52
	s_mul_i32 s47, s69, s4
	s_add_i32 s7, s46, s7
	s_mul_i32 s46, s71, s2
	s_mul_hi_u32 s52, s70, s2
	s_mul_i32 vcc_lo, s70, s2
	s_mul_hi_u32 s2, s68, s4
	s_lshr_b32 s14, s14, s87
	s_add_i32 vcc_hi, s52, s46
	s_mov_b32 s8, s79
	s_mov_b32 s79, s53
	s_add_i32 s53, s2, s47
	s_mul_i32 s52, s68, s4
	s_mul_i32 s4, s4, s63
	;; [unrolled: 1-line block ×3, first 2 shown]
	s_mul_hi_u32 s46, s66, s39
	s_mov_b32 s83, s55
	s_add_i32 s55, s46, s2
	s_mov_b32 s81, s54
	s_mul_i32 s54, s66, s39
	s_mul_i32 s39, s39, s62
	;; [unrolled: 1-line block ×3, first 2 shown]
	s_mul_hi_u32 s46, s89, s14
	s_mov_b32 s30, s69
	s_sub_i32 s69, s49, s4
	s_add_i32 s57, s46, s2
	s_mul_i32 s56, s89, s14
	s_mul_i32 s14, s14, s94
	s_mov_b32 s72, s70
	s_mov_b32 s70, s68
	;; [unrolled: 1-line block ×5, first 2 shown]
	s_sub_i32 s58, s51, s39
	s_mul_i32 s2, s91, s69
	s_mul_hi_u32 s4, s93, s69
	s_sub_i32 s46, s26, s14
	s_mov_b32 s11, s91
	s_mov_b32 s91, s59
	s_add_i32 s59, s4, s2
	s_mul_i32 s2, s75, s58
	s_mul_hi_u32 s4, s76, s58
	s_add_i32 s61, s4, s2
	s_mul_i32 s2, s73, s46
	s_mul_hi_u32 s4, s74, s46
	s_mov_b32 s23, s67
	s_mov_b32 s67, s63
	s_add_i32 s63, s4, s2
	s_mul_i32 s2, s28, s78
	s_add_u32 s2, s2, s20
	s_addc_u32 s14, s15, s21
	s_mul_i32 s4, s26, s80
	v_readlane_b32 s0, v26, 35
	s_add_u32 s4, s4, s0
	v_readlane_b32 s0, v26, 36
	s_addc_u32 s15, s38, s0
	s_mul_i32 s38, s51, s82
	v_readlane_b32 s0, v26, 37
	s_add_u32 s38, s38, s0
	v_readlane_b32 s0, v26, 38
	;; [unrolled: 5-line block ×3, first 2 shown]
	s_addc_u32 s3, s3, s0
	v_readlane_b32 s0, v26, 22
	s_mul_i32 s47, s38, s0
	s_mov_b32 s9, s93
	s_mov_b32 s93, s60
	s_mul_hi_u32 s60, s38, s90
	s_add_i32 s47, s60, s47
	s_mul_i32 s60, s4, s64
	s_mov_b32 s22, s65
	s_mov_b32 s65, s62
	s_mul_hi_u32 s62, s4, s88
	v_readlane_b32 s0, v26, 24
	s_add_i32 s60, s62, s60
	s_mul_i32 s62, s2, s0
	s_mov_b32 s31, s71
	s_mul_hi_u32 s71, s2, s86
	v_readlane_b32 s0, v26, 23
	s_add_i32 s62, s71, s62
	s_mul_i32 s71, s39, s0
	s_mov_b32 s0, s73
	s_mul_hi_u32 s73, s39, s92
	s_add_i32 s71, s73, s71
	s_mul_i32 s73, s14, s86
	s_mul_i32 s10, s15, s88
	;; [unrolled: 1-line block ×3, first 2 shown]
	s_lshl_b64 s[14:15], s[6:7], 1
	s_mul_i32 s6, s3, s92
	s_add_i32 s3, s47, s5
	s_add_i32 s7, s60, s10
	;; [unrolled: 1-line block ×4, first 2 shown]
	s_add_u32 s6, s24, s14
	s_addc_u32 s60, s25, s15
	s_lshl_b64 s[14:15], s[56:57], 1
	s_add_u32 s56, s24, s14
	s_addc_u32 s57, s25, s15
	s_lshl_b64 s[14:15], s[54:55], 1
	;; [unrolled: 3-line block ×3, first 2 shown]
	s_add_u32 s52, s24, s14
	s_addc_u32 s53, s25, s15
	s_lshl_b64 s[14:15], vcc, 1
	s_add_u32 s6, s6, s14
	s_mul_i32 s62, s74, s46
	s_addc_u32 s71, s60, s15
	s_lshl_b64 s[14:15], s[62:63], 1
	s_add_u32 s46, s56, s14
	s_mul_i32 s60, s76, s58
	s_addc_u32 s56, s57, s15
	s_lshl_b64 s[14:15], s[60:61], 1
	;; [unrolled: 4-line block ×3, first 2 shown]
	s_add_u32 s52, s52, s14
	s_addc_u32 s53, s53, s15
	s_lshl_b64 s[14:15], s[36:37], 1
	s_add_u32 s6, s6, s14
	s_addc_u32 s57, s71, s15
	v_mov_b32_e32 v9, s57
	v_add_co_u32_e32 v8, vcc, s6, v0
	s_add_u32 s6, s46, s14
	v_addc_co_u32_e32 v9, vcc, v9, v1, vcc
	s_addc_u32 s46, s56, s15
	v_mov_b32_e32 v13, s46
	v_add_co_u32_e32 v12, vcc, s6, v0
	s_add_u32 s6, s54, s14
	v_addc_co_u32_e32 v13, vcc, v13, v1, vcc
	s_addc_u32 s46, s55, s15
	s_add_u32 s14, s52, s14
	v_mov_b32_e32 v15, s46
	v_add_co_u32_e32 v14, vcc, s6, v0
	s_addc_u32 s15, s53, s15
	v_addc_co_u32_e32 v15, vcc, v15, v1, vcc
	v_mov_b32_e32 v17, s15
	v_add_co_u32_e32 v16, vcc, s14, v0
	v_addc_co_u32_e32 v17, vcc, v17, v1, vcc
	global_load_ushort v18, v[8:9], off
	global_load_ushort v19, v[12:13], off
	;; [unrolled: 1-line block ×4, first 2 shown]
	s_mul_i32 s46, s2, s86
	s_mul_i32 s6, s4, s88
	s_mul_i32 s2, s38, s90
	s_mul_i32 s4, s39, s92
	s_mov_b32 s73, s0
	s_lshl_b64 s[14:15], s[46:47], 1
	s_lshl_b64 s[6:7], s[6:7], 1
	;; [unrolled: 1-line block ×4, first 2 shown]
	v_readlane_b32 s0, v26, 33
	v_mov_b32_e32 v9, s15
	v_mov_b32_e32 v13, s7
	v_add_co_u32_e32 v8, vcc, s6, v2
	v_mov_b32_e32 v15, s3
	v_add_co_u32_e64 v12, s[2:3], s2, v2
	v_mov_b32_e32 v22, s5
	v_add_co_u32_e64 v14, s[4:5], s4, v2
	s_add_u32 s49, s49, s0
	v_add_co_u32_e64 v16, s[6:7], s14, v2
	v_readlane_b32 s0, v26, 34
	v_addc_co_u32_e64 v17, s[6:7], v3, v9, s[6:7]
	v_addc_co_u32_e32 v9, vcc, v3, v13, vcc
	v_addc_co_u32_e64 v13, vcc, v3, v15, s[2:3]
	v_addc_co_u32_e64 v15, vcc, v3, v22, s[4:5]
	s_addc_u32 s33, s33, s0
	v_readlane_b32 s0, v26, 31
	s_add_u32 s51, s51, s0
	v_readlane_b32 s0, v26, 32
	s_addc_u32 s48, s48, s0
	v_readlane_b32 s0, v26, 29
	s_add_u32 s26, s26, s0
	v_readlane_b32 s0, v26, 30
	s_addc_u32 s27, s27, s0
	s_add_u32 s28, s28, s42
	s_addc_u32 s29, s29, s43
	s_add_u32 s44, s44, -4
	s_addc_u32 s45, s45, -1
	s_mov_b32 s63, s67
	s_mov_b32 s67, s23
	;; [unrolled: 1-line block ×23, first 2 shown]
	s_cmp_lg_u64 s[44:45], 0
	s_waitcnt vmcnt(3)
	v_cvt_f32_f16_e32 v18, v18
	s_waitcnt vmcnt(2)
	v_cvt_f32_f16_e32 v19, v19
	;; [unrolled: 2-line block ×4, first 2 shown]
	v_and_b32_e32 v22, 0x7f800000, v18
	v_bfe_u32 v23, v18, 16, 1
	v_or_b32_e32 v24, 0x10000, v18
	v_cmp_eq_u32_sdwa vcc, v18, v11 src0_sel:WORD_0 src1_sel:DWORD
	v_add3_u32 v23, v18, v23, s50
	v_cndmask_b32_e32 v18, v24, v18, vcc
	v_cmp_eq_u32_e32 vcc, s95, v22
	v_and_b32_e32 v22, 0x7f800000, v19
	v_bfe_u32 v24, v19, 16, 1
	v_or_b32_e32 v25, 0x10000, v19
	v_cndmask_b32_e32 v18, v23, v18, vcc
	v_cmp_eq_u32_sdwa vcc, v19, v11 src0_sel:WORD_0 src1_sel:DWORD
	v_add3_u32 v23, v19, v24, s50
	v_cndmask_b32_e32 v19, v25, v19, vcc
	v_cmp_eq_u32_e32 vcc, s95, v22
	global_store_short_d16_hi v[16:17], v18, off
	v_and_b32_e32 v16, 0x7f800000, v20
	v_bfe_u32 v17, v20, 16, 1
	v_or_b32_e32 v18, 0x10000, v20
	v_cndmask_b32_e32 v19, v23, v19, vcc
	v_cmp_eq_u32_sdwa vcc, v20, v11 src0_sel:WORD_0 src1_sel:DWORD
	v_add3_u32 v17, v20, v17, s50
	v_cndmask_b32_e32 v18, v18, v20, vcc
	v_cmp_eq_u32_e32 vcc, s95, v16
	global_store_short_d16_hi v[8:9], v19, off
	v_and_b32_e32 v8, 0x7f800000, v21
	v_bfe_u32 v9, v21, 16, 1
	v_or_b32_e32 v16, 0x10000, v21
	v_cndmask_b32_e32 v17, v17, v18, vcc
	v_cmp_eq_u32_sdwa vcc, v21, v11 src0_sel:WORD_0 src1_sel:DWORD
	v_add3_u32 v9, v21, v9, s50
	v_cndmask_b32_e32 v16, v16, v21, vcc
	v_cmp_eq_u32_e32 vcc, s95, v8
	v_cndmask_b32_e32 v8, v9, v16, vcc
	global_store_short_d16_hi v[12:13], v17, off
	global_store_short_d16_hi v[14:15], v8, off
	s_cbranch_scc1 .LBB53_10
; %bb.11:                               ;   in Loop: Header=BB53_4 Depth=1
	v_readlane_b32 s4, v26, 41
	v_readlane_b32 s10, v26, 27
	;; [unrolled: 1-line block ×3, first 2 shown]
	s_mul_i32 s0, s5, s10
	s_mul_hi_u32 s1, s4, s10
	s_add_i32 s1, s1, s0
	s_mul_i32 s0, s4, s10
	v_readlane_b32 s28, v26, 10
	s_add_u32 s2, s0, s28
	s_addc_u32 s3, s1, 0
	v_readlane_b32 s0, v26, 25
	v_readlane_b32 s40, v26, 12
	;; [unrolled: 1-line block ×4, first 2 shown]
	s_cmp_lg_u64 s[0:1], s[4:5]
	v_readlane_b32 s42, v26, 14
	v_readlane_b32 s43, v26, 15
	;; [unrolled: 1-line block ×6, first 2 shown]
	s_cselect_b64 s[4:5], -1, 0
	s_mov_b64 s[38:39], s[42:43]
	v_readlane_b32 s31, v26, 17
	v_readlane_b32 s41, v26, 19
	;; [unrolled: 1-line block ×7, first 2 shown]
.LBB53_12:                              ;   in Loop: Header=BB53_4 Depth=1
	s_and_b64 vcc, exec, s[4:5]
	s_cbranch_vccz .LBB53_3
; %bb.13:                               ;   in Loop: Header=BB53_4 Depth=1
	s_mul_i32 s0, s38, s3
	s_mul_hi_u32 s1, s38, s2
	s_add_i32 s0, s1, s0
	s_mul_i32 s1, s39, s2
	s_add_i32 s0, s0, s1
	s_mul_i32 s1, s38, s2
	s_add_u32 s1, s20, s1
	v_readlane_b32 s6, v26, 8
	s_addc_u32 s0, s21, s0
	v_readlane_b32 s7, v26, 9
	s_mul_i32 s4, s7, s1
	s_mul_i32 s0, s6, s0
	v_mov_b32_e32 v8, s1
	s_add_i32 s4, s0, s4
	v_mad_u64_u32 v[8:9], s[0:1], s6, v8, v[2:3]
	v_add_u32_e32 v9, s4, v9
	v_readlane_b32 s4, v26, 6
	v_readlane_b32 s5, v26, 7
	s_mul_i32 s0, s5, s10
	s_mul_hi_u32 s1, s4, s10
	s_add_i32 s1, s1, s0
	s_mul_i32 s0, s4, s10
	v_mov_b32_e32 v12, s1
	s_branch .LBB53_15
.LBB53_14:                              ;   in Loop: Header=BB53_15 Depth=2
	s_or_b64 exec, exec, s[4:5]
	global_store_short_d16_hi v[8:9], v14, off
	s_add_u32 s2, s2, s10
	v_add_co_u32_e32 v8, vcc, s0, v8
	s_addc_u32 s3, s3, 0
	v_addc_co_u32_e32 v9, vcc, v9, v12, vcc
	v_cmp_ge_i64_e32 vcc, s[2:3], v[4:5]
	s_cbranch_vccnz .LBB53_3
.LBB53_15:                              ;   Parent Loop BB53_4 Depth=1
                                        ; =>  This Inner Loop Header: Depth=2
	s_mul_hi_u32 s1, s12, s2
	s_add_i32 s1, s2, s1
	s_lshr_b32 s1, s1, s13
	s_mul_i32 s4, s26, s1
	s_add_i32 s6, s2, s4
	s_mul_i32 s4, s1, s35
	s_mul_hi_u32 s5, s1, s34
	s_add_i32 s5, s5, s4
	s_mul_i32 s4, s1, s34
	s_mul_i32 s1, s6, s19
	s_mul_hi_u32 s7, s6, s18
	s_add_i32 s7, s7, s1
	s_lshl_b64 s[4:5], s[4:5], 1
	s_mul_i32 s6, s6, s18
	s_add_u32 s1, s24, s4
	s_addc_u32 s8, s25, s5
	s_lshl_b64 s[4:5], s[6:7], 1
	s_add_u32 s1, s1, s4
	s_addc_u32 s6, s8, s5
	s_lshl_b64 s[4:5], s[36:37], 1
	s_add_u32 s1, s1, s4
	s_addc_u32 s4, s6, s5
	v_mov_b32_e32 v13, s4
	v_add_co_u32_e32 v14, vcc, s1, v0
	v_addc_co_u32_e32 v15, vcc, v13, v1, vcc
	global_load_ushort v13, v[14:15], off
	s_waitcnt vmcnt(0)
	v_cvt_f32_f16_e32 v13, v13
	v_and_b32_e32 v14, 0x7f800000, v13
	v_cmp_ne_u32_e32 vcc, s95, v14
                                        ; implicit-def: $vgpr14
	s_and_saveexec_b64 s[4:5], vcc
	s_xor_b64 s[4:5], exec, s[4:5]
; %bb.16:                               ;   in Loop: Header=BB53_15 Depth=2
	v_bfe_u32 v14, v13, 16, 1
	v_add3_u32 v14, v13, v14, s50
                                        ; implicit-def: $vgpr13
; %bb.17:                               ;   in Loop: Header=BB53_15 Depth=2
	s_andn2_saveexec_b64 s[4:5], s[4:5]
	s_cbranch_execz .LBB53_14
; %bb.18:                               ;   in Loop: Header=BB53_15 Depth=2
	v_or_b32_e32 v14, 0x10000, v13
	v_cmp_eq_u32_sdwa vcc, v13, v11 src0_sel:WORD_0 src1_sel:DWORD
	v_cndmask_b32_e32 v14, v14, v13, vcc
	s_branch .LBB53_14
.LBB53_19:                              ;   in Loop: Header=BB53_4 Depth=1
                                        ; implicit-def: $sgpr4_sgpr5
	s_branch .LBB53_7
.LBB53_20:
	s_endpgm
	.section	.rodata,"a",@progbits
	.p2align	6, 0x0
	.amdhsa_kernel _ZL13convert_unaryI6__half14__hip_bfloat16EvPKvPT0_lll15HIP_vector_typeIjLj3EElll
		.amdhsa_group_segment_fixed_size 0
		.amdhsa_private_segment_fixed_size 0
		.amdhsa_kernarg_size 336
		.amdhsa_user_sgpr_count 6
		.amdhsa_user_sgpr_private_segment_buffer 1
		.amdhsa_user_sgpr_dispatch_ptr 0
		.amdhsa_user_sgpr_queue_ptr 0
		.amdhsa_user_sgpr_kernarg_segment_ptr 1
		.amdhsa_user_sgpr_dispatch_id 0
		.amdhsa_user_sgpr_flat_scratch_init 0
		.amdhsa_user_sgpr_kernarg_preload_length 0
		.amdhsa_user_sgpr_kernarg_preload_offset 0
		.amdhsa_user_sgpr_private_segment_size 0
		.amdhsa_uses_dynamic_stack 0
		.amdhsa_system_sgpr_private_segment_wavefront_offset 0
		.amdhsa_system_sgpr_workgroup_id_x 1
		.amdhsa_system_sgpr_workgroup_id_y 1
		.amdhsa_system_sgpr_workgroup_id_z 1
		.amdhsa_system_sgpr_workgroup_info 0
		.amdhsa_system_vgpr_workitem_id 0
		.amdhsa_next_free_vgpr 27
		.amdhsa_next_free_sgpr 96
		.amdhsa_accum_offset 28
		.amdhsa_reserve_vcc 1
		.amdhsa_reserve_flat_scratch 0
		.amdhsa_float_round_mode_32 0
		.amdhsa_float_round_mode_16_64 0
		.amdhsa_float_denorm_mode_32 3
		.amdhsa_float_denorm_mode_16_64 3
		.amdhsa_dx10_clamp 1
		.amdhsa_ieee_mode 1
		.amdhsa_fp16_overflow 0
		.amdhsa_tg_split 0
		.amdhsa_exception_fp_ieee_invalid_op 0
		.amdhsa_exception_fp_denorm_src 0
		.amdhsa_exception_fp_ieee_div_zero 0
		.amdhsa_exception_fp_ieee_overflow 0
		.amdhsa_exception_fp_ieee_underflow 0
		.amdhsa_exception_fp_ieee_inexact 0
		.amdhsa_exception_int_div_zero 0
	.end_amdhsa_kernel
	.section	.text._ZL13convert_unaryI6__half14__hip_bfloat16EvPKvPT0_lll15HIP_vector_typeIjLj3EElll,"axG",@progbits,_ZL13convert_unaryI6__half14__hip_bfloat16EvPKvPT0_lll15HIP_vector_typeIjLj3EElll,comdat
.Lfunc_end53:
	.size	_ZL13convert_unaryI6__half14__hip_bfloat16EvPKvPT0_lll15HIP_vector_typeIjLj3EElll, .Lfunc_end53-_ZL13convert_unaryI6__half14__hip_bfloat16EvPKvPT0_lll15HIP_vector_typeIjLj3EElll
                                        ; -- End function
	.section	.AMDGPU.csdata,"",@progbits
; Kernel info:
; codeLenInByte = 3564
; NumSgprs: 100
; NumVgprs: 27
; NumAgprs: 0
; TotalNumVgprs: 27
; ScratchSize: 0
; MemoryBound: 0
; FloatMode: 240
; IeeeMode: 1
; LDSByteSize: 0 bytes/workgroup (compile time only)
; SGPRBlocks: 12
; VGPRBlocks: 3
; NumSGPRsForWavesPerEU: 100
; NumVGPRsForWavesPerEU: 27
; AccumOffset: 28
; Occupancy: 8
; WaveLimiterHint : 0
; COMPUTE_PGM_RSRC2:SCRATCH_EN: 0
; COMPUTE_PGM_RSRC2:USER_SGPR: 6
; COMPUTE_PGM_RSRC2:TRAP_HANDLER: 0
; COMPUTE_PGM_RSRC2:TGID_X_EN: 1
; COMPUTE_PGM_RSRC2:TGID_Y_EN: 1
; COMPUTE_PGM_RSRC2:TGID_Z_EN: 1
; COMPUTE_PGM_RSRC2:TIDIG_COMP_CNT: 0
; COMPUTE_PGM_RSRC3_GFX90A:ACCUM_OFFSET: 6
; COMPUTE_PGM_RSRC3_GFX90A:TG_SPLIT: 0
	.section	.text._ZL13convert_unaryI6__halffEvPKvPT0_lll15HIP_vector_typeIjLj3EElll,"axG",@progbits,_ZL13convert_unaryI6__halffEvPKvPT0_lll15HIP_vector_typeIjLj3EElll,comdat
	.globl	_ZL13convert_unaryI6__halffEvPKvPT0_lll15HIP_vector_typeIjLj3EElll ; -- Begin function _ZL13convert_unaryI6__halffEvPKvPT0_lll15HIP_vector_typeIjLj3EElll
	.p2align	8
	.type	_ZL13convert_unaryI6__halffEvPKvPT0_lll15HIP_vector_typeIjLj3EElll,@function
_ZL13convert_unaryI6__halffEvPKvPT0_lll15HIP_vector_typeIjLj3EElll: ; @_ZL13convert_unaryI6__halffEvPKvPT0_lll15HIP_vector_typeIjLj3EElll
; %bb.0:
	s_load_dword s0, s[4:5], 0x5c
	s_load_dwordx4 s[20:23], s[4:5], 0x10
	s_add_u32 s28, s4, 0x50
	s_addc_u32 s29, s5, 0
	v_mov_b32_e32 v1, 0
	s_waitcnt lgkmcnt(0)
	s_and_b32 s0, s0, 0xffff
	v_mov_b32_e32 v2, s6
	v_mad_u64_u32 v[2:3], s[0:1], s0, v2, v[0:1]
	v_cmp_gt_i64_e32 vcc, s[20:21], v[2:3]
	s_and_saveexec_b64 s[0:1], vcc
	s_cbranch_execz .LBB54_16
; %bb.1:
	s_mov_b32 s10, s7
	s_load_dwordx2 s[6:7], s[4:5], 0x20
	s_mov_b32 s11, 0
	v_pk_mov_b32 v[0:1], s[22:23], s[22:23] op_sel:[0,1]
	v_cmp_ge_i64_e32 vcc, s[10:11], v[0:1]
	s_cbranch_vccnz .LBB54_16
; %bb.2:
	s_load_dwordx4 s[24:27], s[4:5], 0x0
	s_load_dwordx8 s[12:19], s[4:5], 0x28
	s_load_dwordx2 s[30:31], s[4:5], 0x48
	s_waitcnt lgkmcnt(0)
	s_load_dword s15, s[28:29], 0x4
	v_lshlrev_b64 v[0:1], 2, v[2:3]
	s_mul_i32 s0, s22, s21
	s_mul_hi_u32 s1, s22, s20
	v_mov_b32_e32 v4, s27
	v_add_co_u32_e32 v0, vcc, s26, v0
	s_add_i32 s0, s1, s0
	s_mul_i32 s1, s23, s20
	s_mov_b32 s9, s11
	v_addc_co_u32_e32 v1, vcc, v4, v1, vcc
	v_pk_mov_b32 v[4:5], s[6:7], s[6:7] op_sel:[0,1]
	s_add_i32 s1, s0, s1
	s_mul_i32 s0, s22, s20
	s_mov_b32 s33, s8
	s_mov_b32 s44, s11
	;; [unrolled: 1-line block ×21, first 2 shown]
	s_lshl_b64 s[4:5], s[20:21], 2
	s_lshl_b64 s[20:21], s[0:1], 2
	s_sub_i32 s64, 0, s14
	v_cmp_lt_i64_e64 s[0:1], s[8:9], v[4:5]
	v_lshlrev_b64 v[2:3], 1, v[2:3]
	v_pk_mov_b32 v[4:5], s[22:23], s[22:23] op_sel:[0,1]
	v_mov_b32_e32 v10, 0x4f800000
	v_pk_mov_b32 v[6:7], s[6:7], s[6:7] op_sel:[0,1]
	s_mov_b64 s[26:27], s[10:11]
	s_branch .LBB54_4
.LBB54_3:                               ;   in Loop: Header=BB54_4 Depth=1
	s_waitcnt lgkmcnt(0)
	s_add_u32 s26, s26, s15
	s_addc_u32 s27, s27, 0
	v_cmp_ge_i64_e32 vcc, s[26:27], v[4:5]
	s_cbranch_vccnz .LBB54_16
.LBB54_4:                               ; =>This Loop Header: Depth=1
                                        ;     Child Loop BB54_10 Depth 2
                                        ;     Child Loop BB54_14 Depth 2
	s_andn2_b64 vcc, exec, s[0:1]
	s_cbranch_vccnz .LBB54_3
; %bb.5:                                ;   in Loop: Header=BB54_4 Depth=1
	s_load_dword s10, s[28:29], 0x8
	v_pk_mov_b32 v[8:9], s[6:7], s[6:7] op_sel:[0,1]
	s_waitcnt lgkmcnt(0)
	s_add_u32 s34, s8, s10
	s_addc_u32 s35, 0, 0
	v_pk_mov_b32 v[12:13], s[34:35], s[34:35] op_sel:[0,1]
	v_cmp_lt_i64_e64 s[2:3], s[34:35], v[8:9]
	v_cmp_gt_i64_e32 vcc, s[6:7], v[12:13]
	v_cndmask_b32_e64 v8, 0, 1, s[2:3]
	s_and_b64 s[36:37], vcc, exec
	s_cselect_b32 s37, s6, s34
	v_readfirstlane_b32 s38, v8
	s_cselect_b32 s36, s7, s35
	s_sub_u32 s37, s37, s38
	s_subb_u32 s36, s36, 0
	s_sub_u32 s38, s37, s34
	s_subb_u32 s35, s36, s35
	s_mov_b32 s34, s11
	s_cmp_lg_u64 s[34:35], 0
	s_cbranch_scc0 .LBB54_15
; %bb.6:                                ;   in Loop: Header=BB54_4 Depth=1
	v_cvt_f32_u32_e32 v8, s10
	s_sub_u32 s34, 0, s10
	s_subb_u32 s36, 0, 0
	v_mac_f32_e32 v8, 0, v10
	v_rcp_f32_e32 v8, v8
	v_mul_f32_e32 v8, 0x5f7ffffc, v8
	v_mul_f32_e32 v9, 0x2f800000, v8
	v_trunc_f32_e32 v9, v9
	v_mac_f32_e32 v8, 0xcf800000, v9
	v_cvt_u32_f32_e32 v9, v9
	v_cvt_u32_f32_e32 v8, v8
	v_readfirstlane_b32 s37, v9
	v_readfirstlane_b32 s39, v8
	s_mul_i32 s40, s34, s37
	s_mul_hi_u32 s42, s34, s39
	s_mul_i32 s41, s36, s39
	s_add_i32 s40, s42, s40
	s_mul_i32 s43, s34, s39
	s_add_i32 s40, s40, s41
	s_mul_hi_u32 s42, s39, s43
	s_mul_hi_u32 s41, s39, s40
	s_mul_i32 s39, s39, s40
	s_add_u32 s39, s42, s39
	s_addc_u32 s41, 0, s41
	s_mul_hi_u32 s65, s37, s43
	s_mul_i32 s43, s37, s43
	s_add_u32 s39, s39, s43
	s_mul_hi_u32 s42, s37, s40
	s_addc_u32 s39, s41, s65
	s_addc_u32 s41, s42, 0
	s_mul_i32 s40, s37, s40
	s_add_u32 s39, s39, s40
	s_addc_u32 s40, 0, s41
	v_add_co_u32_e32 v8, vcc, s39, v8
	s_cmp_lg_u64 vcc, 0
	s_addc_u32 s37, s37, s40
	v_readfirstlane_b32 s40, v8
	s_mul_i32 s39, s34, s37
	s_mul_hi_u32 s41, s34, s40
	s_add_i32 s39, s41, s39
	s_mul_i32 s36, s36, s40
	s_add_i32 s39, s39, s36
	s_mul_i32 s34, s34, s40
	s_mul_hi_u32 s41, s37, s34
	s_mul_i32 s42, s37, s34
	s_mul_i32 s65, s40, s39
	s_mul_hi_u32 s34, s40, s34
	s_mul_hi_u32 s43, s40, s39
	s_add_u32 s34, s34, s65
	s_addc_u32 s40, 0, s43
	s_add_u32 s34, s34, s42
	s_mul_hi_u32 s36, s37, s39
	s_addc_u32 s34, s40, s41
	s_addc_u32 s36, s36, 0
	s_mul_i32 s39, s37, s39
	s_add_u32 s34, s34, s39
	s_addc_u32 s36, 0, s36
	v_add_co_u32_e32 v8, vcc, s34, v8
	s_cmp_lg_u64 vcc, 0
	s_addc_u32 s34, s37, s36
	v_readfirstlane_b32 s39, v8
	s_mul_i32 s37, s38, s34
	s_mul_hi_u32 s40, s38, s39
	s_mul_hi_u32 s36, s38, s34
	s_add_u32 s37, s40, s37
	s_addc_u32 s36, 0, s36
	s_mul_hi_u32 s41, s35, s39
	s_mul_i32 s39, s35, s39
	s_add_u32 s37, s37, s39
	s_mul_hi_u32 s40, s35, s34
	s_addc_u32 s36, s36, s41
	s_addc_u32 s37, s40, 0
	s_mul_i32 s34, s35, s34
	s_add_u32 s34, s36, s34
	s_addc_u32 s36, 0, s37
	s_add_u32 s37, s34, 1
	s_addc_u32 s39, s36, 0
	s_add_u32 s40, s34, 2
	s_mul_i32 s42, s10, s36
	s_mul_hi_u32 s43, s10, s34
	s_addc_u32 s41, s36, 0
	s_add_i32 s43, s43, s42
	s_mul_i32 s42, s10, s34
	v_mov_b32_e32 v8, s42
	v_sub_co_u32_e32 v8, vcc, s38, v8
	s_cmp_lg_u64 vcc, 0
	s_subb_u32 s35, s35, s43
	v_subrev_co_u32_e32 v9, vcc, s10, v8
	s_cmp_lg_u64 vcc, 0
	s_subb_u32 s42, s35, 0
	v_readfirstlane_b32 s43, v9
	s_cmp_ge_u32 s43, s10
	s_cselect_b32 s43, -1, 0
	s_cmp_eq_u32 s42, 0
	s_cselect_b32 s42, s43, -1
	s_cmp_lg_u32 s42, 0
	s_cselect_b32 s40, s40, s37
	s_cselect_b32 s37, s41, s39
	v_readfirstlane_b32 s39, v8
	s_cmp_ge_u32 s39, s10
	s_cselect_b32 s39, -1, 0
	s_cmp_eq_u32 s35, 0
	s_cselect_b32 s35, s39, -1
	s_cmp_lg_u32 s35, 0
	s_cselect_b32 s37, s37, s36
	s_cselect_b32 s36, s40, s34
	s_cbranch_execnz .LBB54_8
.LBB54_7:                               ;   in Loop: Header=BB54_4 Depth=1
	v_cvt_f32_u32_e32 v8, s10
	s_sub_i32 s34, 0, s10
	v_rcp_iflag_f32_e32 v8, v8
	v_mul_f32_e32 v8, 0x4f7ffffe, v8
	v_cvt_u32_f32_e32 v8, v8
	v_readfirstlane_b32 s35, v8
	s_mul_i32 s34, s34, s35
	s_mul_hi_u32 s34, s35, s34
	s_add_i32 s35, s35, s34
	s_mul_hi_u32 s34, s38, s35
	s_mul_i32 s36, s34, s10
	s_sub_i32 s36, s38, s36
	s_add_i32 s35, s34, 1
	s_sub_i32 s37, s36, s10
	s_cmp_ge_u32 s36, s10
	s_cselect_b32 s34, s35, s34
	s_cselect_b32 s36, s37, s36
	s_add_i32 s35, s34, 1
	s_cmp_ge_u32 s36, s10
	s_cselect_b32 s36, s35, s34
	s_mov_b32 s37, s11
.LBB54_8:                               ;   in Loop: Header=BB54_4 Depth=1
	s_mul_i32 s34, s26, s17
	s_mul_hi_u32 s35, s26, s16
	s_add_i32 s34, s35, s34
	s_mul_i32 s35, s27, s16
	s_add_i32 s35, s34, s35
	s_and_b64 s[2:3], s[2:3], exec
	s_cselect_b32 s2, 2, 1
	s_add_u32 s36, s2, s36
	s_addc_u32 s37, 0, s37
	v_cmp_gt_u64_e64 s[38:39], s[36:37], 1
	s_mul_i32 s34, s26, s16
	s_mov_b64 s[2:3], -1
	s_and_b64 vcc, exec, s[38:39]
	s_mov_b64 s[40:41], s[8:9]
	s_cbranch_vccz .LBB54_12
; %bb.9:                                ;   in Loop: Header=BB54_4 Depth=1
	s_and_b32 s38, s36, -2
	s_add_u32 s65, s8, s10
	s_mov_b32 s39, s37
	s_addc_u32 s66, 0, 0
	s_lshl_b64 s[40:41], s[10:11], 1
	s_mov_b32 s67, s33
	s_mov_b32 s68, s44
	s_mov_b32 s69, s40
	s_mov_b32 s70, s41
	s_mov_b32 s71, s26
	s_mov_b32 s72, s27
	s_mov_b64 s[42:43], s[38:39]
.LBB54_10:                              ;   Parent Loop BB54_4 Depth=1
                                        ; =>  This Inner Loop Header: Depth=2
	s_mul_hi_u32 s2, s67, s45
	s_mul_hi_u32 s3, s65, s46
	s_mul_i32 s73, s65, s59
	s_mul_hi_u32 s74, s65, s58
	s_mul_i32 s76, s67, s57
	s_mul_hi_u32 s77, s67, s56
	s_add_i32 s3, s3, s65
	s_add_i32 s2, s2, s67
	s_mul_i32 s75, s66, s58
	s_add_i32 s73, s74, s73
	s_add_i32 s74, s77, s76
	s_lshr_b32 s76, s2, s47
	s_lshr_b32 s2, s3, s48
	s_mul_i32 s78, s68, s56
	s_add_i32 s73, s73, s75
	s_mul_i32 s3, s2, s49
	s_mul_i32 s75, s76, s14
	s_add_i32 s82, s74, s78
	s_mul_i32 s77, s51, s2
	s_mul_hi_u32 s78, s50, s2
	s_mul_i32 s79, s31, s76
	s_mul_hi_u32 s83, s30, s76
	s_mul_i32 s74, s30, s76
	s_sub_i32 s84, s67, s75
	s_sub_i32 s76, s65, s3
	s_add_i32 s3, s78, s77
	s_add_i32 s75, s83, s79
	s_mul_i32 s77, s55, s76
	s_mul_hi_u32 s79, s54, s76
	s_mul_i32 s83, s53, s84
	s_mul_hi_u32 s85, s52, s84
	s_mul_i32 s81, s67, s56
	s_add_i32 s77, s79, s77
	s_add_i32 s79, s85, s83
	s_mul_i32 s78, s52, s84
	s_add_u32 s84, s81, s26
	s_mul_i32 s80, s65, s58
	s_addc_u32 s81, s82, s27
	s_add_u32 s85, s80, s71
	s_mul_i32 s82, s84, s61
	s_mul_hi_u32 s83, s84, s60
	s_addc_u32 s73, s73, s72
	s_mul_i32 s80, s85, s63
	s_mul_hi_u32 s86, s85, s62
	s_mul_i32 s81, s81, s60
	s_add_i32 s82, s83, s82
	s_add_i32 s80, s86, s80
	s_mul_i32 s73, s73, s62
	s_lshl_b64 s[74:75], s[74:75], 1
	s_add_i32 s81, s82, s81
	s_add_i32 s83, s80, s73
	s_mul_i32 s2, s50, s2
	s_add_u32 s73, s24, s74
	s_addc_u32 s74, s25, s75
	s_lshl_b64 s[2:3], s[2:3], 1
	s_add_u32 s75, s24, s2
	s_addc_u32 s80, s25, s3
	s_lshl_b64 s[2:3], s[78:79], 1
	s_mul_i32 s76, s54, s76
	s_add_u32 s73, s73, s2
	s_addc_u32 s74, s74, s3
	s_lshl_b64 s[2:3], s[76:77], 1
	s_add_u32 s75, s75, s2
	s_addc_u32 s76, s80, s3
	s_lshl_b64 s[2:3], s[34:35], 1
	s_add_u32 s73, s73, s2
	s_addc_u32 s74, s74, s3
	s_add_u32 s2, s75, s2
	v_mov_b32_e32 v9, s74
	v_add_co_u32_e32 v8, vcc, s73, v2
	s_addc_u32 s3, s76, s3
	v_addc_co_u32_e32 v9, vcc, v9, v3, vcc
	v_mov_b32_e32 v11, s3
	global_load_ushort v14, v[8:9], off
	v_add_co_u32_e32 v8, vcc, s2, v2
	v_addc_co_u32_e32 v9, vcc, v11, v3, vcc
	global_load_ushort v11, v[8:9], off
	s_mul_i32 s80, s84, s60
	s_mul_i32 s82, s85, s62
	s_lshl_b64 s[2:3], s[80:81], 2
	s_lshl_b64 s[74:75], s[82:83], 2
	s_add_u32 s65, s65, s69
	s_addc_u32 s66, s66, s70
	s_add_u32 s67, s67, s40
	s_addc_u32 s68, s68, s41
	s_add_u32 s42, s42, -2
	v_mov_b32_e32 v9, s3
	v_add_co_u32_e64 v12, s[2:3], s2, v0
	s_addc_u32 s43, s43, -1
	v_mov_b32_e32 v15, s75
	v_add_co_u32_e32 v8, vcc, s74, v0
	v_addc_co_u32_e64 v13, s[2:3], v1, v9, s[2:3]
	s_cmp_lg_u64 s[42:43], 0
	v_addc_co_u32_e32 v9, vcc, v1, v15, vcc
	s_waitcnt vmcnt(1)
	v_cvt_f32_f16_e32 v14, v14
	s_waitcnt vmcnt(0)
	v_cvt_f32_f16_e32 v11, v11
	global_store_dword v[12:13], v14, off
	global_store_dword v[8:9], v11, off
	s_cbranch_scc1 .LBB54_10
; %bb.11:                               ;   in Loop: Header=BB54_4 Depth=1
	s_mul_i32 s2, s39, s10
	s_mul_hi_u32 s3, s38, s10
	s_add_i32 s3, s3, s2
	s_mul_i32 s2, s38, s10
	s_add_u32 s40, s2, s8
	s_addc_u32 s41, s3, 0
	s_cmp_lg_u64 s[36:37], s[38:39]
	s_cselect_b64 s[2:3], -1, 0
.LBB54_12:                              ;   in Loop: Header=BB54_4 Depth=1
	s_and_b64 vcc, exec, s[2:3]
	s_cbranch_vccz .LBB54_3
; %bb.13:                               ;   in Loop: Header=BB54_4 Depth=1
	s_mul_i32 s2, s22, s41
	s_mul_hi_u32 s3, s22, s40
	s_add_i32 s2, s3, s2
	s_mul_i32 s3, s23, s40
	s_add_i32 s2, s2, s3
	s_mul_i32 s3, s22, s40
	s_add_u32 s3, s26, s3
	s_addc_u32 s2, s27, s2
	s_mul_i32 s36, s5, s3
	s_mul_i32 s2, s4, s2
	v_mov_b32_e32 v8, s3
	s_add_i32 s36, s2, s36
	v_mad_u64_u32 v[8:9], s[2:3], s4, v8, v[0:1]
	s_mul_i32 s2, s21, s10
	s_mul_hi_u32 s3, s20, s10
	s_add_i32 s2, s3, s2
	v_add_u32_e32 v9, s36, v9
	s_mul_i32 s36, s20, s10
	v_mov_b32_e32 v11, s2
.LBB54_14:                              ;   Parent Loop BB54_4 Depth=1
                                        ; =>  This Inner Loop Header: Depth=2
	s_mul_hi_u32 s2, s12, s40
	s_add_i32 s2, s40, s2
	s_lshr_b32 s2, s2, s13
	s_mul_i32 s3, s64, s2
	s_mul_i32 s37, s2, s31
	s_mul_hi_u32 s38, s2, s30
	s_add_i32 s39, s40, s3
	s_mul_i32 s2, s2, s30
	s_add_i32 s3, s38, s37
	s_mul_i32 s37, s39, s19
	s_mul_hi_u32 s42, s39, s18
	s_mul_i32 s38, s39, s18
	s_lshl_b64 s[2:3], s[2:3], 1
	s_add_i32 s39, s42, s37
	s_add_u32 s37, s24, s2
	s_addc_u32 s42, s25, s3
	s_lshl_b64 s[2:3], s[38:39], 1
	s_add_u32 s37, s37, s2
	s_addc_u32 s38, s42, s3
	s_lshl_b64 s[2:3], s[34:35], 1
	s_add_u32 s2, s37, s2
	s_addc_u32 s3, s38, s3
	v_mov_b32_e32 v13, s3
	v_add_co_u32_e32 v12, vcc, s2, v2
	v_addc_co_u32_e32 v13, vcc, v13, v3, vcc
	global_load_ushort v12, v[12:13], off
	s_add_u32 s40, s40, s10
	s_addc_u32 s41, s41, 0
	v_cmp_ge_i64_e32 vcc, s[40:41], v[6:7]
	s_and_b64 vcc, exec, vcc
	s_waitcnt vmcnt(0)
	v_cvt_f32_f16_e32 v12, v12
	global_store_dword v[8:9], v12, off
	v_add_co_u32_e64 v8, s[2:3], s36, v8
	v_addc_co_u32_e64 v9, s[2:3], v9, v11, s[2:3]
	s_cbranch_vccz .LBB54_14
	s_branch .LBB54_3
.LBB54_15:                              ;   in Loop: Header=BB54_4 Depth=1
                                        ; implicit-def: $sgpr36_sgpr37
	s_branch .LBB54_7
.LBB54_16:
	s_endpgm
	.section	.rodata,"a",@progbits
	.p2align	6, 0x0
	.amdhsa_kernel _ZL13convert_unaryI6__halffEvPKvPT0_lll15HIP_vector_typeIjLj3EElll
		.amdhsa_group_segment_fixed_size 0
		.amdhsa_private_segment_fixed_size 0
		.amdhsa_kernarg_size 336
		.amdhsa_user_sgpr_count 6
		.amdhsa_user_sgpr_private_segment_buffer 1
		.amdhsa_user_sgpr_dispatch_ptr 0
		.amdhsa_user_sgpr_queue_ptr 0
		.amdhsa_user_sgpr_kernarg_segment_ptr 1
		.amdhsa_user_sgpr_dispatch_id 0
		.amdhsa_user_sgpr_flat_scratch_init 0
		.amdhsa_user_sgpr_kernarg_preload_length 0
		.amdhsa_user_sgpr_kernarg_preload_offset 0
		.amdhsa_user_sgpr_private_segment_size 0
		.amdhsa_uses_dynamic_stack 0
		.amdhsa_system_sgpr_private_segment_wavefront_offset 0
		.amdhsa_system_sgpr_workgroup_id_x 1
		.amdhsa_system_sgpr_workgroup_id_y 1
		.amdhsa_system_sgpr_workgroup_id_z 1
		.amdhsa_system_sgpr_workgroup_info 0
		.amdhsa_system_vgpr_workitem_id 0
		.amdhsa_next_free_vgpr 16
		.amdhsa_next_free_sgpr 87
		.amdhsa_accum_offset 16
		.amdhsa_reserve_vcc 1
		.amdhsa_reserve_flat_scratch 0
		.amdhsa_float_round_mode_32 0
		.amdhsa_float_round_mode_16_64 0
		.amdhsa_float_denorm_mode_32 3
		.amdhsa_float_denorm_mode_16_64 3
		.amdhsa_dx10_clamp 1
		.amdhsa_ieee_mode 1
		.amdhsa_fp16_overflow 0
		.amdhsa_tg_split 0
		.amdhsa_exception_fp_ieee_invalid_op 0
		.amdhsa_exception_fp_denorm_src 0
		.amdhsa_exception_fp_ieee_div_zero 0
		.amdhsa_exception_fp_ieee_overflow 0
		.amdhsa_exception_fp_ieee_underflow 0
		.amdhsa_exception_fp_ieee_inexact 0
		.amdhsa_exception_int_div_zero 0
	.end_amdhsa_kernel
	.section	.text._ZL13convert_unaryI6__halffEvPKvPT0_lll15HIP_vector_typeIjLj3EElll,"axG",@progbits,_ZL13convert_unaryI6__halffEvPKvPT0_lll15HIP_vector_typeIjLj3EElll,comdat
.Lfunc_end54:
	.size	_ZL13convert_unaryI6__halffEvPKvPT0_lll15HIP_vector_typeIjLj3EElll, .Lfunc_end54-_ZL13convert_unaryI6__halffEvPKvPT0_lll15HIP_vector_typeIjLj3EElll
                                        ; -- End function
	.section	.AMDGPU.csdata,"",@progbits
; Kernel info:
; codeLenInByte = 1824
; NumSgprs: 91
; NumVgprs: 16
; NumAgprs: 0
; TotalNumVgprs: 16
; ScratchSize: 0
; MemoryBound: 0
; FloatMode: 240
; IeeeMode: 1
; LDSByteSize: 0 bytes/workgroup (compile time only)
; SGPRBlocks: 11
; VGPRBlocks: 1
; NumSGPRsForWavesPerEU: 91
; NumVGPRsForWavesPerEU: 16
; AccumOffset: 16
; Occupancy: 8
; WaveLimiterHint : 0
; COMPUTE_PGM_RSRC2:SCRATCH_EN: 0
; COMPUTE_PGM_RSRC2:USER_SGPR: 6
; COMPUTE_PGM_RSRC2:TRAP_HANDLER: 0
; COMPUTE_PGM_RSRC2:TGID_X_EN: 1
; COMPUTE_PGM_RSRC2:TGID_Y_EN: 1
; COMPUTE_PGM_RSRC2:TGID_Z_EN: 1
; COMPUTE_PGM_RSRC2:TIDIG_COMP_CNT: 0
; COMPUTE_PGM_RSRC3_GFX90A:ACCUM_OFFSET: 3
; COMPUTE_PGM_RSRC3_GFX90A:TG_SPLIT: 0
	.section	.text._ZL16dequantize_blockILi128ELi1EXadL_ZL15dequantize_q1_0PKvliR15HIP_vector_typeIfLj2EEEEfEvS1_PT2_lllS2_IjLj3EElll,"axG",@progbits,_ZL16dequantize_blockILi128ELi1EXadL_ZL15dequantize_q1_0PKvliR15HIP_vector_typeIfLj2EEEEfEvS1_PT2_lllS2_IjLj3EElll,comdat
	.globl	_ZL16dequantize_blockILi128ELi1EXadL_ZL15dequantize_q1_0PKvliR15HIP_vector_typeIfLj2EEEEfEvS1_PT2_lllS2_IjLj3EElll ; -- Begin function _ZL16dequantize_blockILi128ELi1EXadL_ZL15dequantize_q1_0PKvliR15HIP_vector_typeIfLj2EEEEfEvS1_PT2_lllS2_IjLj3EElll
	.p2align	8
	.type	_ZL16dequantize_blockILi128ELi1EXadL_ZL15dequantize_q1_0PKvliR15HIP_vector_typeIfLj2EEEEfEvS1_PT2_lllS2_IjLj3EElll,@function
_ZL16dequantize_blockILi128ELi1EXadL_ZL15dequantize_q1_0PKvliR15HIP_vector_typeIfLj2EEEEfEvS1_PT2_lllS2_IjLj3EElll: ; @_ZL16dequantize_blockILi128ELi1EXadL_ZL15dequantize_q1_0PKvliR15HIP_vector_typeIfLj2EEEEfEvS1_PT2_lllS2_IjLj3EElll
; %bb.0:
	s_mov_b32 s10, s7
	s_load_dword s7, s[4:5], 0x5c
	s_load_dwordx4 s[0:3], s[4:5], 0x10
	s_add_u32 s24, s4, 0x50
	s_addc_u32 s25, s5, 0
	v_mov_b32_e32 v1, 0
	s_waitcnt lgkmcnt(0)
	s_and_b32 s9, s7, 0xffff
	v_mov_b32_e32 v2, s6
	v_mad_u64_u32 v[4:5], s[12:13], s9, v2, v[0:1]
	v_lshlrev_b64 v[8:9], 1, v[4:5]
	v_cmp_gt_i64_e32 vcc, s[0:1], v[8:9]
	s_and_saveexec_b64 s[12:13], vcc
	s_cbranch_execz .LBB55_7
; %bb.1:
	s_load_dwordx2 s[28:29], s[4:5], 0x20
	s_mov_b32 s11, 0
	v_pk_mov_b32 v[2:3], s[2:3], s[2:3] op_sel:[0,1]
	v_cmp_ge_i64_e32 vcc, s[10:11], v[2:3]
	s_cbranch_vccnz .LBB55_7
; %bb.2:
	s_load_dwordx4 s[20:23], s[4:5], 0x0
	s_load_dwordx8 s[12:19], s[4:5], 0x28
	s_load_dwordx2 s[26:27], s[4:5], 0x48
	s_mul_i32 s4, s3, s8
	s_mul_hi_u32 s5, s2, s8
	s_add_i32 s5, s5, s4
	s_mul_i32 s4, s2, s8
	s_add_u32 s4, s4, s10
	s_addc_u32 s5, s5, 0
	s_mul_i32 s5, s0, s5
	s_waitcnt lgkmcnt(0)
	s_mul_hi_u32 s15, s0, s4
	s_add_i32 s5, s15, s5
	s_mul_i32 s15, s1, s4
	v_lshrrev_b64 v[4:5], 6, v[4:5]
	s_add_i32 s5, s5, s15
	s_mul_i32 s4, s0, s4
	s_lshl_b64 s[4:5], s[4:5], 2
	v_lshlrev_b64 v[10:11], 9, v[4:5]
	v_add_co_u32_e32 v9, vcc, s4, v10
	v_mov_b32_e32 v10, s7
	v_mad_legacy_u16 v0, s6, v10, v0
	v_pk_mov_b32 v[2:3], s[28:29], s[28:29] op_sel:[0,1]
	s_load_dword s28, s[24:25], 0x4
	v_mov_b32_e32 v7, s5
	v_and_b32_e32 v0, 63, v0
	v_addc_co_u32_e32 v7, vcc, v7, v11, vcc
	v_lshlrev_b32_e32 v0, 3, v0
	v_add_co_u32_e32 v0, vcc, v9, v0
	v_addc_co_u32_e32 v7, vcc, 0, v7, vcc
	v_mov_b32_e32 v9, s23
	v_add_co_u32_e32 v10, vcc, s22, v0
	s_mov_b32 s9, s11
	v_addc_co_u32_e32 v11, vcc, v9, v7, vcc
	s_waitcnt lgkmcnt(0)
	s_mul_i32 s4, s1, s28
	s_mul_hi_u32 s5, s0, s28
	s_mul_i32 s1, s2, s1
	s_mul_hi_u32 s6, s2, s0
	s_add_i32 s5, s5, s4
	s_mul_i32 s4, s0, s28
	s_add_i32 s1, s6, s1
	s_mul_i32 s6, s3, s0
	v_cmp_lt_i64_e32 vcc, s[8:9], v[2:3]
	v_bfe_u32 v6, v8, 3, 4
	v_and_b32_e32 v8, 6, v8
	s_lshl_b64 s[4:5], s[4:5], 2
	s_add_i32 s1, s1, s6
	s_mul_i32 s0, s2, s0
	v_cndmask_b32_e64 v7, 0, 1, vcc
	v_or_b32_e32 v1, 1, v8
	s_lshl_b64 s[6:7], s[0:1], 2
	s_sub_i32 s22, 0, s14
	v_mov_b32_e32 v0, s5
	v_pk_mov_b32 v[12:13], s[2:3], s[2:3] op_sel:[0,1]
	v_cmp_ne_u32_e64 s[0:1], 1, v7
	s_branch .LBB55_4
.LBB55_3:                               ;   in Loop: Header=BB55_4 Depth=1
	s_add_u32 s10, s10, s28
	v_add_co_u32_e32 v10, vcc, s4, v10
	s_addc_u32 s11, s11, 0
	v_addc_co_u32_e32 v11, vcc, v11, v0, vcc
	v_cmp_ge_i64_e32 vcc, s[10:11], v[12:13]
	s_cbranch_vccnz .LBB55_7
.LBB55_4:                               ; =>This Loop Header: Depth=1
                                        ;     Child Loop BB55_6 Depth 2
	s_and_b64 vcc, exec, s[0:1]
	s_cbranch_vccnz .LBB55_3
; %bb.5:                                ;   in Loop: Header=BB55_4 Depth=1
	s_load_dword s5, s[24:25], 0x8
	s_mul_i32 s2, s10, s17
	s_mul_hi_u32 s3, s10, s16
	s_add_i32 s2, s3, s2
	s_mul_i32 s3, s11, s16
	s_add_i32 s23, s2, s3
	s_waitcnt lgkmcnt(0)
	s_mul_i32 s2, s7, s5
	s_mul_hi_u32 s3, s6, s5
	s_add_i32 s2, s3, s2
	s_mul_i32 s29, s10, s16
	s_mul_i32 s30, s6, s5
	v_mov_b32_e32 v7, s2
	v_pk_mov_b32 v[14:15], v[10:11], v[10:11] op_sel:[0,1]
	s_mov_b64 s[14:15], s[8:9]
.LBB55_6:                               ;   Parent Loop BB55_4 Depth=1
                                        ; =>  This Inner Loop Header: Depth=2
	s_mul_hi_u32 s2, s12, s14
	s_add_i32 s2, s14, s2
	s_lshr_b32 s2, s2, s13
	s_mul_i32 s34, s22, s2
	s_mul_i32 s35, s2, s27
	s_mul_hi_u32 s36, s2, s26
	s_mul_i32 s2, s2, s26
	s_add_i32 s34, s14, s34
	s_add_i32 s35, s36, s35
	s_mul_hi_u32 s36, s2, 18
	s_mul_i32 s37, s34, s19
	s_mul_hi_u32 s38, s34, s18
	s_mul_i32 s35, s35, 18
	s_mul_i32 s2, s2, 18
	;; [unrolled: 1-line block ×3, first 2 shown]
	s_add_i32 s37, s38, s37
	s_add_i32 s36, s36, s35
	s_mul_hi_u32 s35, s34, 18
	s_add_u32 s2, s20, s2
	s_mul_i32 s37, s37, 18
	s_mul_i32 s34, s34, 18
	s_addc_u32 s36, s21, s36
	s_add_i32 s35, s35, s37
	s_mul_i32 s3, s23, 18
	s_mul_hi_u32 s31, s29, 18
	s_add_u32 s2, s2, s34
	s_mul_i32 s33, s29, 18
	s_addc_u32 s34, s36, s35
	s_add_i32 s31, s31, s3
	s_add_u32 s2, s2, s33
	s_addc_u32 s3, s34, s31
	v_mad_u64_u32 v[16:17], s[2:3], v4, 18, s[2:3]
	v_mov_b32_e32 v18, v17
	v_mad_u64_u32 v[18:19], s[2:3], v5, 18, v[18:19]
	v_mov_b32_e32 v17, v18
	v_add_co_u32_e32 v18, vcc, v16, v6
	v_addc_co_u32_e32 v19, vcc, 0, v17, vcc
	global_load_ushort v9, v[16:17], off
	global_load_ubyte v20, v[18:19], off offset:2
	s_add_u32 s14, s14, s5
	s_addc_u32 s15, s15, 0
	v_cmp_ge_i64_e32 vcc, s[14:15], v[2:3]
	s_and_b64 vcc, exec, vcc
	s_waitcnt vmcnt(1)
	v_cvt_f32_f16_e32 v16, v9
	s_waitcnt vmcnt(0)
	v_lshrrev_b32_e32 v9, v1, v20
	v_lshrrev_b32_e32 v17, v8, v20
	v_lshlrev_b32_e32 v17, 1, v17
	v_lshlrev_b32_e32 v9, 1, v9
	v_and_b32_e32 v9, 2, v9
	v_and_b32_e32 v17, 2, v17
	v_add_u32_e32 v17, -1, v17
	v_add_u32_e32 v9, -1, v9
	v_cvt_f32_i32_e32 v19, v9
	v_cvt_f32_i32_e32 v18, v17
	v_pk_mul_f32 v[16:17], v[16:17], v[18:19] op_sel_hi:[0,1]
	global_store_dwordx2 v[14:15], v[16:17], off
	v_add_co_u32_e64 v14, s[2:3], s30, v14
	v_addc_co_u32_e64 v15, s[2:3], v15, v7, s[2:3]
	s_cbranch_vccz .LBB55_6
	s_branch .LBB55_3
.LBB55_7:
	s_endpgm
	.section	.rodata,"a",@progbits
	.p2align	6, 0x0
	.amdhsa_kernel _ZL16dequantize_blockILi128ELi1EXadL_ZL15dequantize_q1_0PKvliR15HIP_vector_typeIfLj2EEEEfEvS1_PT2_lllS2_IjLj3EElll
		.amdhsa_group_segment_fixed_size 0
		.amdhsa_private_segment_fixed_size 0
		.amdhsa_kernarg_size 336
		.amdhsa_user_sgpr_count 6
		.amdhsa_user_sgpr_private_segment_buffer 1
		.amdhsa_user_sgpr_dispatch_ptr 0
		.amdhsa_user_sgpr_queue_ptr 0
		.amdhsa_user_sgpr_kernarg_segment_ptr 1
		.amdhsa_user_sgpr_dispatch_id 0
		.amdhsa_user_sgpr_flat_scratch_init 0
		.amdhsa_user_sgpr_kernarg_preload_length 0
		.amdhsa_user_sgpr_kernarg_preload_offset 0
		.amdhsa_user_sgpr_private_segment_size 0
		.amdhsa_uses_dynamic_stack 0
		.amdhsa_system_sgpr_private_segment_wavefront_offset 0
		.amdhsa_system_sgpr_workgroup_id_x 1
		.amdhsa_system_sgpr_workgroup_id_y 1
		.amdhsa_system_sgpr_workgroup_id_z 1
		.amdhsa_system_sgpr_workgroup_info 0
		.amdhsa_system_vgpr_workitem_id 0
		.amdhsa_next_free_vgpr 21
		.amdhsa_next_free_sgpr 39
		.amdhsa_accum_offset 24
		.amdhsa_reserve_vcc 1
		.amdhsa_reserve_flat_scratch 0
		.amdhsa_float_round_mode_32 0
		.amdhsa_float_round_mode_16_64 0
		.amdhsa_float_denorm_mode_32 3
		.amdhsa_float_denorm_mode_16_64 3
		.amdhsa_dx10_clamp 1
		.amdhsa_ieee_mode 1
		.amdhsa_fp16_overflow 0
		.amdhsa_tg_split 0
		.amdhsa_exception_fp_ieee_invalid_op 0
		.amdhsa_exception_fp_denorm_src 0
		.amdhsa_exception_fp_ieee_div_zero 0
		.amdhsa_exception_fp_ieee_overflow 0
		.amdhsa_exception_fp_ieee_underflow 0
		.amdhsa_exception_fp_ieee_inexact 0
		.amdhsa_exception_int_div_zero 0
	.end_amdhsa_kernel
	.section	.text._ZL16dequantize_blockILi128ELi1EXadL_ZL15dequantize_q1_0PKvliR15HIP_vector_typeIfLj2EEEEfEvS1_PT2_lllS2_IjLj3EElll,"axG",@progbits,_ZL16dequantize_blockILi128ELi1EXadL_ZL15dequantize_q1_0PKvliR15HIP_vector_typeIfLj2EEEEfEvS1_PT2_lllS2_IjLj3EElll,comdat
.Lfunc_end55:
	.size	_ZL16dequantize_blockILi128ELi1EXadL_ZL15dequantize_q1_0PKvliR15HIP_vector_typeIfLj2EEEEfEvS1_PT2_lllS2_IjLj3EElll, .Lfunc_end55-_ZL16dequantize_blockILi128ELi1EXadL_ZL15dequantize_q1_0PKvliR15HIP_vector_typeIfLj2EEEEfEvS1_PT2_lllS2_IjLj3EElll
                                        ; -- End function
	.section	.AMDGPU.csdata,"",@progbits
; Kernel info:
; codeLenInByte = 768
; NumSgprs: 43
; NumVgprs: 21
; NumAgprs: 0
; TotalNumVgprs: 21
; ScratchSize: 0
; MemoryBound: 0
; FloatMode: 240
; IeeeMode: 1
; LDSByteSize: 0 bytes/workgroup (compile time only)
; SGPRBlocks: 5
; VGPRBlocks: 2
; NumSGPRsForWavesPerEU: 43
; NumVGPRsForWavesPerEU: 21
; AccumOffset: 24
; Occupancy: 8
; WaveLimiterHint : 0
; COMPUTE_PGM_RSRC2:SCRATCH_EN: 0
; COMPUTE_PGM_RSRC2:USER_SGPR: 6
; COMPUTE_PGM_RSRC2:TRAP_HANDLER: 0
; COMPUTE_PGM_RSRC2:TGID_X_EN: 1
; COMPUTE_PGM_RSRC2:TGID_Y_EN: 1
; COMPUTE_PGM_RSRC2:TGID_Z_EN: 1
; COMPUTE_PGM_RSRC2:TIDIG_COMP_CNT: 0
; COMPUTE_PGM_RSRC3_GFX90A:ACCUM_OFFSET: 5
; COMPUTE_PGM_RSRC3_GFX90A:TG_SPLIT: 0
	.section	.text._ZL16dequantize_blockILi32ELi2EXadL_ZL15dequantize_q4_0PKvliR15HIP_vector_typeIfLj2EEEEfEvS1_PT2_lllS2_IjLj3EElll,"axG",@progbits,_ZL16dequantize_blockILi32ELi2EXadL_ZL15dequantize_q4_0PKvliR15HIP_vector_typeIfLj2EEEEfEvS1_PT2_lllS2_IjLj3EElll,comdat
	.globl	_ZL16dequantize_blockILi32ELi2EXadL_ZL15dequantize_q4_0PKvliR15HIP_vector_typeIfLj2EEEEfEvS1_PT2_lllS2_IjLj3EElll ; -- Begin function _ZL16dequantize_blockILi32ELi2EXadL_ZL15dequantize_q4_0PKvliR15HIP_vector_typeIfLj2EEEEfEvS1_PT2_lllS2_IjLj3EElll
	.p2align	8
	.type	_ZL16dequantize_blockILi32ELi2EXadL_ZL15dequantize_q4_0PKvliR15HIP_vector_typeIfLj2EEEEfEvS1_PT2_lllS2_IjLj3EElll,@function
_ZL16dequantize_blockILi32ELi2EXadL_ZL15dequantize_q4_0PKvliR15HIP_vector_typeIfLj2EEEEfEvS1_PT2_lllS2_IjLj3EElll: ; @_ZL16dequantize_blockILi32ELi2EXadL_ZL15dequantize_q4_0PKvliR15HIP_vector_typeIfLj2EEEEfEvS1_PT2_lllS2_IjLj3EElll
; %bb.0:
	s_mov_b32 s10, s7
	s_load_dword s7, s[4:5], 0x5c
	s_load_dwordx4 s[0:3], s[4:5], 0x10
	s_add_u32 s24, s4, 0x50
	s_addc_u32 s25, s5, 0
	v_mov_b32_e32 v1, 0
	s_waitcnt lgkmcnt(0)
	s_and_b32 s7, s7, 0xffff
	v_mov_b32_e32 v2, s6
	v_mad_u64_u32 v[4:5], s[6:7], s7, v2, v[0:1]
	v_lshlrev_b64 v[0:1], 1, v[4:5]
	v_cmp_gt_i64_e32 vcc, s[0:1], v[0:1]
	s_and_saveexec_b64 s[6:7], vcc
	s_cbranch_execz .LBB56_7
; %bb.1:
	s_load_dwordx2 s[26:27], s[4:5], 0x20
	s_mov_b32 s11, 0
	v_pk_mov_b32 v[0:1], s[2:3], s[2:3] op_sel:[0,1]
	v_cmp_ge_i64_e32 vcc, s[10:11], v[0:1]
	s_cbranch_vccnz .LBB56_7
; %bb.2:
	s_load_dwordx4 s[20:23], s[4:5], 0x0
	s_load_dwordx8 s[12:19], s[4:5], 0x28
	s_load_dwordx2 s[6:7], s[4:5], 0x48
	s_mul_i32 s4, s3, s8
	s_mul_hi_u32 s5, s2, s8
	s_add_i32 s5, s5, s4
	s_mul_i32 s4, s2, s8
	s_add_u32 s4, s4, s10
	s_addc_u32 s5, s5, 0
	s_mul_i32 s5, s0, s5
	s_waitcnt lgkmcnt(0)
	s_mul_hi_u32 s15, s0, s4
	s_add_i32 s5, s15, s5
	s_mul_i32 s15, s1, s4
	v_lshrrev_b64 v[2:3], 4, v[4:5]
	s_add_i32 s5, s5, s15
	s_mul_i32 s4, s0, s4
	s_lshl_b64 s[4:5], s[4:5], 2
	v_lshlrev_b64 v[6:7], 7, v[2:3]
	v_and_b32_e32 v4, 15, v4
	v_mov_b32_e32 v5, s5
	v_add_co_u32_e32 v6, vcc, s4, v6
	v_addc_co_u32_e32 v5, vcc, v5, v7, vcc
	v_lshlrev_b32_e32 v7, 2, v4
	v_pk_mov_b32 v[0:1], s[26:27], s[26:27] op_sel:[0,1]
	s_load_dword s26, s[24:25], 0x4
	v_add_co_u32_e32 v6, vcc, v6, v7
	v_addc_co_u32_e32 v5, vcc, 0, v5, vcc
	v_mov_b32_e32 v7, s23
	v_add_co_u32_e32 v6, vcc, s22, v6
	v_addc_co_u32_e32 v5, vcc, v5, v7, vcc
	v_add_co_u32_e32 v6, vcc, 64, v6
	s_mov_b32 s9, s11
	v_addc_co_u32_e32 v7, vcc, 0, v5, vcc
	s_waitcnt lgkmcnt(0)
	s_mul_i32 s4, s1, s26
	s_mul_hi_u32 s5, s0, s26
	s_mul_i32 s1, s2, s1
	s_mul_hi_u32 s15, s2, s0
	s_add_i32 s5, s5, s4
	s_mul_i32 s4, s0, s26
	s_add_i32 s1, s15, s1
	s_mul_i32 s15, s3, s0
	v_cmp_lt_i64_e32 vcc, s[8:9], v[0:1]
	s_lshl_b64 s[4:5], s[4:5], 2
	s_add_i32 s1, s1, s15
	s_mul_i32 s0, s2, s0
	v_cndmask_b32_e64 v10, 0, 1, vcc
	s_lshl_b64 s[22:23], s[0:1], 2
	s_sub_i32 s27, 0, s14
	v_mov_b32_e32 v5, s5
	v_pk_mov_b32 v[8:9], s[2:3], s[2:3] op_sel:[0,1]
	v_cmp_ne_u32_e64 s[0:1], 1, v10
	s_branch .LBB56_4
.LBB56_3:                               ;   in Loop: Header=BB56_4 Depth=1
	s_add_u32 s10, s10, s26
	v_add_co_u32_e32 v6, vcc, s4, v6
	s_addc_u32 s11, s11, 0
	v_addc_co_u32_e32 v7, vcc, v7, v5, vcc
	v_cmp_ge_i64_e32 vcc, s[10:11], v[8:9]
	s_cbranch_vccnz .LBB56_7
.LBB56_4:                               ; =>This Loop Header: Depth=1
                                        ;     Child Loop BB56_6 Depth 2
	s_and_b64 vcc, exec, s[0:1]
	s_cbranch_vccnz .LBB56_3
; %bb.5:                                ;   in Loop: Header=BB56_4 Depth=1
	s_load_dword s5, s[24:25], 0x8
	s_mul_i32 s2, s10, s17
	s_mul_hi_u32 s3, s10, s16
	s_add_i32 s2, s3, s2
	s_mul_i32 s3, s11, s16
	s_add_i32 s28, s2, s3
	s_waitcnt lgkmcnt(0)
	s_mul_i32 s2, s23, s5
	s_mul_hi_u32 s3, s22, s5
	s_add_i32 s2, s3, s2
	s_mul_i32 s29, s10, s16
	s_mul_i32 s30, s22, s5
	v_mov_b32_e32 v12, s2
	v_pk_mov_b32 v[10:11], v[6:7], v[6:7] op_sel:[0,1]
	s_mov_b64 s[14:15], s[8:9]
.LBB56_6:                               ;   Parent Loop BB56_4 Depth=1
                                        ; =>  This Inner Loop Header: Depth=2
	s_mul_hi_u32 s2, s12, s14
	s_add_i32 s2, s14, s2
	s_lshr_b32 s2, s2, s13
	s_mul_i32 s34, s27, s2
	s_mul_i32 s35, s2, s7
	s_mul_hi_u32 s36, s2, s6
	s_mul_i32 s2, s2, s6
	s_add_i32 s34, s14, s34
	s_add_i32 s35, s36, s35
	s_mul_hi_u32 s36, s2, 18
	s_mul_i32 s37, s34, s19
	s_mul_hi_u32 s38, s34, s18
	s_mul_i32 s35, s35, 18
	s_mul_i32 s2, s2, 18
	;; [unrolled: 1-line block ×3, first 2 shown]
	s_add_i32 s37, s38, s37
	s_add_i32 s36, s36, s35
	s_mul_hi_u32 s35, s34, 18
	s_add_u32 s2, s20, s2
	s_mul_i32 s37, s37, 18
	s_mul_i32 s34, s34, 18
	s_addc_u32 s36, s21, s36
	s_add_i32 s35, s35, s37
	s_mul_i32 s3, s28, 18
	s_mul_hi_u32 s31, s29, 18
	s_add_u32 s2, s2, s34
	s_mul_i32 s33, s29, 18
	s_addc_u32 s34, s36, s35
	s_add_i32 s31, s31, s3
	s_add_u32 s2, s2, s33
	s_addc_u32 s3, s34, s31
	v_mad_u64_u32 v[14:15], s[2:3], v2, 18, s[2:3]
	v_mov_b32_e32 v16, v15
	v_mad_u64_u32 v[16:17], s[2:3], v3, 18, v[16:17]
	v_mov_b32_e32 v15, v16
	v_add_co_u32_e32 v16, vcc, v14, v4
	v_addc_co_u32_e32 v17, vcc, 0, v15, vcc
	global_load_ushort v13, v[14:15], off
	global_load_ubyte v18, v[16:17], off offset:2
	s_add_u32 s14, s14, s5
	s_addc_u32 s15, s15, 0
	v_cmp_ge_i64_e32 vcc, s[14:15], v[0:1]
	s_and_b64 vcc, exec, vcc
	s_waitcnt vmcnt(1)
	v_cvt_f32_f16_e32 v13, v13
	s_waitcnt vmcnt(0)
	v_and_b32_e32 v14, 15, v18
	v_lshrrev_b32_e32 v15, 4, v18
	v_add_u32_e32 v14, -8, v14
	v_add_u32_e32 v15, -8, v15
	v_cvt_f32_i32_e32 v14, v14
	v_cvt_f32_i32_e32 v15, v15
	v_mul_f32_e32 v14, v13, v14
	v_mul_f32_e32 v13, v13, v15
	global_store_dword v[10:11], v14, off offset:-64
	global_store_dword v[10:11], v13, off
	v_add_co_u32_e64 v10, s[2:3], s30, v10
	v_addc_co_u32_e64 v11, s[2:3], v11, v12, s[2:3]
	s_cbranch_vccz .LBB56_6
	s_branch .LBB56_3
.LBB56_7:
	s_endpgm
	.section	.rodata,"a",@progbits
	.p2align	6, 0x0
	.amdhsa_kernel _ZL16dequantize_blockILi32ELi2EXadL_ZL15dequantize_q4_0PKvliR15HIP_vector_typeIfLj2EEEEfEvS1_PT2_lllS2_IjLj3EElll
		.amdhsa_group_segment_fixed_size 0
		.amdhsa_private_segment_fixed_size 0
		.amdhsa_kernarg_size 336
		.amdhsa_user_sgpr_count 6
		.amdhsa_user_sgpr_private_segment_buffer 1
		.amdhsa_user_sgpr_dispatch_ptr 0
		.amdhsa_user_sgpr_queue_ptr 0
		.amdhsa_user_sgpr_kernarg_segment_ptr 1
		.amdhsa_user_sgpr_dispatch_id 0
		.amdhsa_user_sgpr_flat_scratch_init 0
		.amdhsa_user_sgpr_kernarg_preload_length 0
		.amdhsa_user_sgpr_kernarg_preload_offset 0
		.amdhsa_user_sgpr_private_segment_size 0
		.amdhsa_uses_dynamic_stack 0
		.amdhsa_system_sgpr_private_segment_wavefront_offset 0
		.amdhsa_system_sgpr_workgroup_id_x 1
		.amdhsa_system_sgpr_workgroup_id_y 1
		.amdhsa_system_sgpr_workgroup_id_z 1
		.amdhsa_system_sgpr_workgroup_info 0
		.amdhsa_system_vgpr_workitem_id 0
		.amdhsa_next_free_vgpr 19
		.amdhsa_next_free_sgpr 39
		.amdhsa_accum_offset 20
		.amdhsa_reserve_vcc 1
		.amdhsa_reserve_flat_scratch 0
		.amdhsa_float_round_mode_32 0
		.amdhsa_float_round_mode_16_64 0
		.amdhsa_float_denorm_mode_32 3
		.amdhsa_float_denorm_mode_16_64 3
		.amdhsa_dx10_clamp 1
		.amdhsa_ieee_mode 1
		.amdhsa_fp16_overflow 0
		.amdhsa_tg_split 0
		.amdhsa_exception_fp_ieee_invalid_op 0
		.amdhsa_exception_fp_denorm_src 0
		.amdhsa_exception_fp_ieee_div_zero 0
		.amdhsa_exception_fp_ieee_overflow 0
		.amdhsa_exception_fp_ieee_underflow 0
		.amdhsa_exception_fp_ieee_inexact 0
		.amdhsa_exception_int_div_zero 0
	.end_amdhsa_kernel
	.section	.text._ZL16dequantize_blockILi32ELi2EXadL_ZL15dequantize_q4_0PKvliR15HIP_vector_typeIfLj2EEEEfEvS1_PT2_lllS2_IjLj3EElll,"axG",@progbits,_ZL16dequantize_blockILi32ELi2EXadL_ZL15dequantize_q4_0PKvliR15HIP_vector_typeIfLj2EEEEfEvS1_PT2_lllS2_IjLj3EElll,comdat
.Lfunc_end56:
	.size	_ZL16dequantize_blockILi32ELi2EXadL_ZL15dequantize_q4_0PKvliR15HIP_vector_typeIfLj2EEEEfEvS1_PT2_lllS2_IjLj3EElll, .Lfunc_end56-_ZL16dequantize_blockILi32ELi2EXadL_ZL15dequantize_q4_0PKvliR15HIP_vector_typeIfLj2EEEEfEvS1_PT2_lllS2_IjLj3EElll
                                        ; -- End function
	.section	.AMDGPU.csdata,"",@progbits
; Kernel info:
; codeLenInByte = 740
; NumSgprs: 43
; NumVgprs: 19
; NumAgprs: 0
; TotalNumVgprs: 19
; ScratchSize: 0
; MemoryBound: 0
; FloatMode: 240
; IeeeMode: 1
; LDSByteSize: 0 bytes/workgroup (compile time only)
; SGPRBlocks: 5
; VGPRBlocks: 2
; NumSGPRsForWavesPerEU: 43
; NumVGPRsForWavesPerEU: 19
; AccumOffset: 20
; Occupancy: 8
; WaveLimiterHint : 0
; COMPUTE_PGM_RSRC2:SCRATCH_EN: 0
; COMPUTE_PGM_RSRC2:USER_SGPR: 6
; COMPUTE_PGM_RSRC2:TRAP_HANDLER: 0
; COMPUTE_PGM_RSRC2:TGID_X_EN: 1
; COMPUTE_PGM_RSRC2:TGID_Y_EN: 1
; COMPUTE_PGM_RSRC2:TGID_Z_EN: 1
; COMPUTE_PGM_RSRC2:TIDIG_COMP_CNT: 0
; COMPUTE_PGM_RSRC3_GFX90A:ACCUM_OFFSET: 4
; COMPUTE_PGM_RSRC3_GFX90A:TG_SPLIT: 0
	.section	.text._ZL16dequantize_blockILi32ELi2EXadL_ZL15dequantize_q4_1PKvliR15HIP_vector_typeIfLj2EEEEfEvS1_PT2_lllS2_IjLj3EElll,"axG",@progbits,_ZL16dequantize_blockILi32ELi2EXadL_ZL15dequantize_q4_1PKvliR15HIP_vector_typeIfLj2EEEEfEvS1_PT2_lllS2_IjLj3EElll,comdat
	.globl	_ZL16dequantize_blockILi32ELi2EXadL_ZL15dequantize_q4_1PKvliR15HIP_vector_typeIfLj2EEEEfEvS1_PT2_lllS2_IjLj3EElll ; -- Begin function _ZL16dequantize_blockILi32ELi2EXadL_ZL15dequantize_q4_1PKvliR15HIP_vector_typeIfLj2EEEEfEvS1_PT2_lllS2_IjLj3EElll
	.p2align	8
	.type	_ZL16dequantize_blockILi32ELi2EXadL_ZL15dequantize_q4_1PKvliR15HIP_vector_typeIfLj2EEEEfEvS1_PT2_lllS2_IjLj3EElll,@function
_ZL16dequantize_blockILi32ELi2EXadL_ZL15dequantize_q4_1PKvliR15HIP_vector_typeIfLj2EEEEfEvS1_PT2_lllS2_IjLj3EElll: ; @_ZL16dequantize_blockILi32ELi2EXadL_ZL15dequantize_q4_1PKvliR15HIP_vector_typeIfLj2EEEEfEvS1_PT2_lllS2_IjLj3EElll
; %bb.0:
	s_mov_b32 s10, s7
	s_load_dword s7, s[4:5], 0x5c
	s_load_dwordx4 s[0:3], s[4:5], 0x10
	s_add_u32 s24, s4, 0x50
	s_addc_u32 s25, s5, 0
	v_mov_b32_e32 v1, 0
	s_waitcnt lgkmcnt(0)
	s_and_b32 s7, s7, 0xffff
	v_mov_b32_e32 v2, s6
	v_mad_u64_u32 v[4:5], s[6:7], s7, v2, v[0:1]
	v_lshlrev_b64 v[0:1], 1, v[4:5]
	v_cmp_gt_i64_e32 vcc, s[0:1], v[0:1]
	s_and_saveexec_b64 s[6:7], vcc
	s_cbranch_execz .LBB57_7
; %bb.1:
	s_load_dwordx2 s[26:27], s[4:5], 0x20
	s_mov_b32 s11, 0
	v_pk_mov_b32 v[0:1], s[2:3], s[2:3] op_sel:[0,1]
	v_cmp_ge_i64_e32 vcc, s[10:11], v[0:1]
	s_cbranch_vccnz .LBB57_7
; %bb.2:
	s_load_dwordx4 s[20:23], s[4:5], 0x0
	s_load_dwordx8 s[12:19], s[4:5], 0x28
	s_load_dwordx2 s[6:7], s[4:5], 0x48
	s_mul_i32 s4, s3, s8
	s_mul_hi_u32 s5, s2, s8
	s_add_i32 s5, s5, s4
	s_mul_i32 s4, s2, s8
	s_add_u32 s4, s4, s10
	s_addc_u32 s5, s5, 0
	s_mul_i32 s5, s0, s5
	s_waitcnt lgkmcnt(0)
	s_mul_hi_u32 s15, s0, s4
	s_add_i32 s5, s15, s5
	s_mul_i32 s15, s1, s4
	v_lshrrev_b64 v[2:3], 4, v[4:5]
	s_add_i32 s5, s5, s15
	s_mul_i32 s4, s0, s4
	s_lshl_b64 s[4:5], s[4:5], 2
	v_lshlrev_b64 v[6:7], 7, v[2:3]
	v_and_b32_e32 v4, 15, v4
	v_mov_b32_e32 v5, s5
	v_add_co_u32_e32 v6, vcc, s4, v6
	v_addc_co_u32_e32 v5, vcc, v5, v7, vcc
	v_lshlrev_b32_e32 v7, 2, v4
	v_pk_mov_b32 v[0:1], s[26:27], s[26:27] op_sel:[0,1]
	s_load_dword s26, s[24:25], 0x4
	v_add_co_u32_e32 v6, vcc, v6, v7
	v_addc_co_u32_e32 v5, vcc, 0, v5, vcc
	v_mov_b32_e32 v7, s23
	v_add_co_u32_e32 v6, vcc, s22, v6
	v_addc_co_u32_e32 v5, vcc, v5, v7, vcc
	v_add_co_u32_e32 v6, vcc, 64, v6
	s_mov_b32 s9, s11
	v_addc_co_u32_e32 v7, vcc, 0, v5, vcc
	s_waitcnt lgkmcnt(0)
	s_mul_i32 s4, s1, s26
	s_mul_hi_u32 s5, s0, s26
	s_mul_i32 s1, s2, s1
	s_mul_hi_u32 s15, s2, s0
	s_add_i32 s5, s5, s4
	s_mul_i32 s4, s0, s26
	s_add_i32 s1, s15, s1
	s_mul_i32 s15, s3, s0
	v_cmp_lt_i64_e32 vcc, s[8:9], v[0:1]
	s_lshl_b64 s[4:5], s[4:5], 2
	s_add_i32 s1, s1, s15
	s_mul_i32 s0, s2, s0
	v_cndmask_b32_e64 v10, 0, 1, vcc
	s_lshl_b64 s[22:23], s[0:1], 2
	s_sub_i32 s27, 0, s14
	v_mov_b32_e32 v5, s5
	v_pk_mov_b32 v[8:9], s[2:3], s[2:3] op_sel:[0,1]
	v_cmp_ne_u32_e64 s[0:1], 1, v10
	s_branch .LBB57_4
.LBB57_3:                               ;   in Loop: Header=BB57_4 Depth=1
	s_add_u32 s10, s10, s26
	v_add_co_u32_e32 v6, vcc, s4, v6
	s_addc_u32 s11, s11, 0
	v_addc_co_u32_e32 v7, vcc, v7, v5, vcc
	v_cmp_ge_i64_e32 vcc, s[10:11], v[8:9]
	s_cbranch_vccnz .LBB57_7
.LBB57_4:                               ; =>This Loop Header: Depth=1
                                        ;     Child Loop BB57_6 Depth 2
	s_and_b64 vcc, exec, s[0:1]
	s_cbranch_vccnz .LBB57_3
; %bb.5:                                ;   in Loop: Header=BB57_4 Depth=1
	s_load_dword s5, s[24:25], 0x8
	s_mul_i32 s2, s10, s17
	s_mul_hi_u32 s3, s10, s16
	s_add_i32 s2, s3, s2
	s_mul_i32 s3, s11, s16
	s_add_i32 s28, s2, s3
	s_waitcnt lgkmcnt(0)
	s_mul_i32 s2, s23, s5
	s_mul_hi_u32 s3, s22, s5
	s_add_i32 s2, s3, s2
	s_mul_i32 s29, s10, s16
	s_mul_i32 s30, s22, s5
	v_mov_b32_e32 v12, s2
	v_pk_mov_b32 v[10:11], v[6:7], v[6:7] op_sel:[0,1]
	s_mov_b64 s[14:15], s[8:9]
.LBB57_6:                               ;   Parent Loop BB57_4 Depth=1
                                        ; =>  This Inner Loop Header: Depth=2
	s_mul_hi_u32 s2, s12, s14
	s_add_i32 s2, s14, s2
	s_lshr_b32 s2, s2, s13
	s_mul_i32 s34, s27, s2
	s_mul_i32 s35, s2, s7
	s_mul_hi_u32 s36, s2, s6
	s_mul_i32 s2, s2, s6
	s_add_i32 s34, s14, s34
	s_add_i32 s35, s36, s35
	s_mul_hi_u32 s36, s2, 20
	s_mul_i32 s37, s34, s19
	s_mul_hi_u32 s38, s34, s18
	s_mul_i32 s35, s35, 20
	s_mul_i32 s2, s2, 20
	;; [unrolled: 1-line block ×3, first 2 shown]
	s_add_i32 s37, s38, s37
	s_add_i32 s36, s36, s35
	s_mul_hi_u32 s35, s34, 20
	s_add_u32 s2, s20, s2
	s_mul_i32 s37, s37, 20
	s_mul_i32 s34, s34, 20
	s_addc_u32 s36, s21, s36
	s_add_i32 s35, s35, s37
	s_mul_i32 s3, s28, 20
	s_mul_hi_u32 s31, s29, 20
	s_add_u32 s2, s2, s34
	s_mul_i32 s33, s29, 20
	s_addc_u32 s34, s36, s35
	s_add_i32 s31, s31, s3
	s_add_u32 s2, s2, s33
	s_addc_u32 s3, s34, s31
	v_mad_u64_u32 v[14:15], s[2:3], v2, 20, s[2:3]
	v_mov_b32_e32 v16, v15
	v_mad_u64_u32 v[16:17], s[2:3], v3, 20, v[16:17]
	v_mov_b32_e32 v15, v16
	v_add_co_u32_e32 v16, vcc, v14, v4
	v_addc_co_u32_e32 v17, vcc, 0, v15, vcc
	global_load_dword v13, v[14:15], off
	global_load_ubyte v18, v[16:17], off offset:4
	s_add_u32 s14, s14, s5
	s_addc_u32 s15, s15, 0
	v_cmp_ge_i64_e32 vcc, s[14:15], v[0:1]
	s_and_b64 vcc, exec, vcc
	s_waitcnt vmcnt(0)
	v_and_b32_e32 v14, 15, v18
	v_lshrrev_b32_e32 v15, 4, v18
	v_cvt_f32_ubyte0_e32 v14, v14
	v_cvt_f32_ubyte0_e32 v15, v15
	v_fma_mix_f32 v14, v13, v14, v13 op_sel:[0,0,1] op_sel_hi:[1,0,1]
	v_fma_mix_f32 v13, v13, v15, v13 op_sel:[0,0,1] op_sel_hi:[1,0,1]
	global_store_dword v[10:11], v14, off offset:-64
	global_store_dword v[10:11], v13, off
	v_add_co_u32_e64 v10, s[2:3], s30, v10
	v_addc_co_u32_e64 v11, s[2:3], v11, v12, s[2:3]
	s_cbranch_vccz .LBB57_6
	s_branch .LBB57_3
.LBB57_7:
	s_endpgm
	.section	.rodata,"a",@progbits
	.p2align	6, 0x0
	.amdhsa_kernel _ZL16dequantize_blockILi32ELi2EXadL_ZL15dequantize_q4_1PKvliR15HIP_vector_typeIfLj2EEEEfEvS1_PT2_lllS2_IjLj3EElll
		.amdhsa_group_segment_fixed_size 0
		.amdhsa_private_segment_fixed_size 0
		.amdhsa_kernarg_size 336
		.amdhsa_user_sgpr_count 6
		.amdhsa_user_sgpr_private_segment_buffer 1
		.amdhsa_user_sgpr_dispatch_ptr 0
		.amdhsa_user_sgpr_queue_ptr 0
		.amdhsa_user_sgpr_kernarg_segment_ptr 1
		.amdhsa_user_sgpr_dispatch_id 0
		.amdhsa_user_sgpr_flat_scratch_init 0
		.amdhsa_user_sgpr_kernarg_preload_length 0
		.amdhsa_user_sgpr_kernarg_preload_offset 0
		.amdhsa_user_sgpr_private_segment_size 0
		.amdhsa_uses_dynamic_stack 0
		.amdhsa_system_sgpr_private_segment_wavefront_offset 0
		.amdhsa_system_sgpr_workgroup_id_x 1
		.amdhsa_system_sgpr_workgroup_id_y 1
		.amdhsa_system_sgpr_workgroup_id_z 1
		.amdhsa_system_sgpr_workgroup_info 0
		.amdhsa_system_vgpr_workitem_id 0
		.amdhsa_next_free_vgpr 19
		.amdhsa_next_free_sgpr 39
		.amdhsa_accum_offset 20
		.amdhsa_reserve_vcc 1
		.amdhsa_reserve_flat_scratch 0
		.amdhsa_float_round_mode_32 0
		.amdhsa_float_round_mode_16_64 0
		.amdhsa_float_denorm_mode_32 3
		.amdhsa_float_denorm_mode_16_64 3
		.amdhsa_dx10_clamp 1
		.amdhsa_ieee_mode 1
		.amdhsa_fp16_overflow 0
		.amdhsa_tg_split 0
		.amdhsa_exception_fp_ieee_invalid_op 0
		.amdhsa_exception_fp_denorm_src 0
		.amdhsa_exception_fp_ieee_div_zero 0
		.amdhsa_exception_fp_ieee_overflow 0
		.amdhsa_exception_fp_ieee_underflow 0
		.amdhsa_exception_fp_ieee_inexact 0
		.amdhsa_exception_int_div_zero 0
	.end_amdhsa_kernel
	.section	.text._ZL16dequantize_blockILi32ELi2EXadL_ZL15dequantize_q4_1PKvliR15HIP_vector_typeIfLj2EEEEfEvS1_PT2_lllS2_IjLj3EElll,"axG",@progbits,_ZL16dequantize_blockILi32ELi2EXadL_ZL15dequantize_q4_1PKvliR15HIP_vector_typeIfLj2EEEEfEvS1_PT2_lllS2_IjLj3EElll,comdat
.Lfunc_end57:
	.size	_ZL16dequantize_blockILi32ELi2EXadL_ZL15dequantize_q4_1PKvliR15HIP_vector_typeIfLj2EEEEfEvS1_PT2_lllS2_IjLj3EElll, .Lfunc_end57-_ZL16dequantize_blockILi32ELi2EXadL_ZL15dequantize_q4_1PKvliR15HIP_vector_typeIfLj2EEEEfEvS1_PT2_lllS2_IjLj3EElll
                                        ; -- End function
	.section	.AMDGPU.csdata,"",@progbits
; Kernel info:
; codeLenInByte = 732
; NumSgprs: 43
; NumVgprs: 19
; NumAgprs: 0
; TotalNumVgprs: 19
; ScratchSize: 0
; MemoryBound: 0
; FloatMode: 240
; IeeeMode: 1
; LDSByteSize: 0 bytes/workgroup (compile time only)
; SGPRBlocks: 5
; VGPRBlocks: 2
; NumSGPRsForWavesPerEU: 43
; NumVGPRsForWavesPerEU: 19
; AccumOffset: 20
; Occupancy: 8
; WaveLimiterHint : 0
; COMPUTE_PGM_RSRC2:SCRATCH_EN: 0
; COMPUTE_PGM_RSRC2:USER_SGPR: 6
; COMPUTE_PGM_RSRC2:TRAP_HANDLER: 0
; COMPUTE_PGM_RSRC2:TGID_X_EN: 1
; COMPUTE_PGM_RSRC2:TGID_Y_EN: 1
; COMPUTE_PGM_RSRC2:TGID_Z_EN: 1
; COMPUTE_PGM_RSRC2:TIDIG_COMP_CNT: 0
; COMPUTE_PGM_RSRC3_GFX90A:ACCUM_OFFSET: 4
; COMPUTE_PGM_RSRC3_GFX90A:TG_SPLIT: 0
	.section	.text._ZL16dequantize_blockILi32ELi2EXadL_ZL15dequantize_q5_0PKvliR15HIP_vector_typeIfLj2EEEEfEvS1_PT2_lllS2_IjLj3EElll,"axG",@progbits,_ZL16dequantize_blockILi32ELi2EXadL_ZL15dequantize_q5_0PKvliR15HIP_vector_typeIfLj2EEEEfEvS1_PT2_lllS2_IjLj3EElll,comdat
	.globl	_ZL16dequantize_blockILi32ELi2EXadL_ZL15dequantize_q5_0PKvliR15HIP_vector_typeIfLj2EEEEfEvS1_PT2_lllS2_IjLj3EElll ; -- Begin function _ZL16dequantize_blockILi32ELi2EXadL_ZL15dequantize_q5_0PKvliR15HIP_vector_typeIfLj2EEEEfEvS1_PT2_lllS2_IjLj3EElll
	.p2align	8
	.type	_ZL16dequantize_blockILi32ELi2EXadL_ZL15dequantize_q5_0PKvliR15HIP_vector_typeIfLj2EEEEfEvS1_PT2_lllS2_IjLj3EElll,@function
_ZL16dequantize_blockILi32ELi2EXadL_ZL15dequantize_q5_0PKvliR15HIP_vector_typeIfLj2EEEEfEvS1_PT2_lllS2_IjLj3EElll: ; @_ZL16dequantize_blockILi32ELi2EXadL_ZL15dequantize_q5_0PKvliR15HIP_vector_typeIfLj2EEEEfEvS1_PT2_lllS2_IjLj3EElll
; %bb.0:
	s_mov_b32 s10, s7
	s_load_dword s7, s[4:5], 0x5c
	s_load_dwordx4 s[0:3], s[4:5], 0x10
	s_add_u32 s24, s4, 0x50
	s_addc_u32 s25, s5, 0
	v_mov_b32_e32 v1, 0
	s_waitcnt lgkmcnt(0)
	s_and_b32 s7, s7, 0xffff
	v_mov_b32_e32 v2, s6
	v_mad_u64_u32 v[4:5], s[6:7], s7, v2, v[0:1]
	v_lshlrev_b64 v[0:1], 1, v[4:5]
	v_cmp_gt_i64_e32 vcc, s[0:1], v[0:1]
	s_and_saveexec_b64 s[6:7], vcc
	s_cbranch_execz .LBB58_7
; %bb.1:
	s_load_dwordx2 s[26:27], s[4:5], 0x20
	s_mov_b32 s11, 0
	v_pk_mov_b32 v[0:1], s[2:3], s[2:3] op_sel:[0,1]
	v_cmp_ge_i64_e32 vcc, s[10:11], v[0:1]
	s_cbranch_vccnz .LBB58_7
; %bb.2:
	s_load_dwordx4 s[20:23], s[4:5], 0x0
	s_load_dwordx8 s[12:19], s[4:5], 0x28
	s_load_dwordx2 s[6:7], s[4:5], 0x48
	s_mul_i32 s4, s3, s8
	s_mul_hi_u32 s5, s2, s8
	s_add_i32 s5, s5, s4
	s_mul_i32 s4, s2, s8
	s_add_u32 s4, s4, s10
	s_addc_u32 s5, s5, 0
	s_mul_i32 s5, s0, s5
	s_waitcnt lgkmcnt(0)
	s_mul_hi_u32 s15, s0, s4
	s_add_i32 s5, s15, s5
	s_mul_i32 s15, s1, s4
	v_lshrrev_b64 v[2:3], 4, v[4:5]
	s_add_i32 s5, s5, s15
	s_mul_i32 s4, s0, s4
	v_pk_mov_b32 v[0:1], s[26:27], s[26:27] op_sel:[0,1]
	s_load_dword s26, s[24:25], 0x4
	s_lshl_b64 s[4:5], s[4:5], 2
	v_lshlrev_b64 v[6:7], 7, v[2:3]
	v_and_b32_e32 v4, 15, v4
	v_mov_b32_e32 v8, s5
	v_add_co_u32_e32 v6, vcc, s4, v6
	v_addc_co_u32_e32 v7, vcc, v8, v7, vcc
	v_lshlrev_b32_e32 v8, 2, v4
	v_add_co_u32_e32 v6, vcc, v6, v8
	v_addc_co_u32_e32 v7, vcc, 0, v7, vcc
	v_mov_b32_e32 v8, s23
	v_add_co_u32_e32 v6, vcc, s22, v6
	s_waitcnt lgkmcnt(0)
	s_mul_i32 s4, s1, s26
	s_mul_hi_u32 s5, s0, s26
	s_mul_i32 s1, s2, s1
	s_mul_hi_u32 s15, s2, s0
	v_addc_co_u32_e32 v7, vcc, v7, v8, vcc
	s_add_i32 s5, s5, s4
	s_mul_i32 s4, s0, s26
	s_add_i32 s1, s15, s1
	s_mul_i32 s15, s3, s0
	s_mov_b32 s9, s11
	v_add_co_u32_e32 v6, vcc, 64, v6
	s_lshl_b64 s[4:5], s[4:5], 2
	s_add_i32 s1, s1, s15
	s_mul_i32 s0, s2, s0
	v_add_u32_e32 v5, 12, v4
	v_addc_co_u32_e32 v7, vcc, 0, v7, vcc
	s_lshl_b64 s[22:23], s[0:1], 2
	s_sub_i32 s27, 0, s14
	v_cmp_lt_i64_e64 s[0:1], s[8:9], v[0:1]
	s_mov_b32 s28, 0x1000706
	v_mov_b32_e32 v12, s5
	v_pk_mov_b32 v[8:9], s[2:3], s[2:3] op_sel:[0,1]
	s_branch .LBB58_4
.LBB58_3:                               ;   in Loop: Header=BB58_4 Depth=1
	s_add_u32 s10, s10, s26
	v_add_co_u32_e32 v6, vcc, s4, v6
	s_addc_u32 s11, s11, 0
	v_addc_co_u32_e32 v7, vcc, v7, v12, vcc
	v_cmp_ge_i64_e32 vcc, s[10:11], v[8:9]
	s_cbranch_vccnz .LBB58_7
.LBB58_4:                               ; =>This Loop Header: Depth=1
                                        ;     Child Loop BB58_6 Depth 2
	s_andn2_b64 vcc, exec, s[0:1]
	s_cbranch_vccnz .LBB58_3
; %bb.5:                                ;   in Loop: Header=BB58_4 Depth=1
	s_load_dword s5, s[24:25], 0x8
	s_mul_i32 s2, s10, s17
	s_mul_hi_u32 s3, s10, s16
	s_add_i32 s2, s3, s2
	s_mul_i32 s3, s11, s16
	s_add_i32 s29, s2, s3
	s_waitcnt lgkmcnt(0)
	s_mul_i32 s2, s23, s5
	s_mul_hi_u32 s3, s22, s5
	s_add_i32 s2, s3, s2
	s_mul_i32 s30, s10, s16
	s_mul_i32 s31, s22, s5
	v_mov_b32_e32 v13, s2
	v_pk_mov_b32 v[10:11], v[6:7], v[6:7] op_sel:[0,1]
	s_mov_b64 s[14:15], s[8:9]
.LBB58_6:                               ;   Parent Loop BB58_4 Depth=1
                                        ; =>  This Inner Loop Header: Depth=2
	s_mul_hi_u32 s2, s12, s14
	s_add_i32 s2, s14, s2
	s_lshr_b32 s2, s2, s13
	s_mul_i32 s35, s27, s2
	s_mul_i32 s36, s2, s7
	s_mul_hi_u32 s37, s2, s6
	s_mul_i32 s2, s2, s6
	s_add_i32 s35, s14, s35
	s_add_i32 s36, s37, s36
	s_mul_hi_u32 s37, s2, 22
	s_mul_i32 s38, s35, s19
	s_mul_hi_u32 s39, s35, s18
	s_mul_i32 s36, s36, 22
	s_mul_i32 s2, s2, 22
	;; [unrolled: 1-line block ×3, first 2 shown]
	s_add_i32 s38, s39, s38
	s_add_i32 s37, s37, s36
	s_mul_hi_u32 s36, s35, 22
	s_add_u32 s2, s20, s2
	s_mul_i32 s38, s38, 22
	s_mul_i32 s35, s35, 22
	s_addc_u32 s37, s21, s37
	s_add_i32 s36, s36, s38
	s_mul_i32 s3, s29, 22
	s_mul_hi_u32 s33, s30, 22
	s_add_u32 s2, s2, s35
	s_mul_i32 s34, s30, 22
	s_addc_u32 s35, s37, s36
	s_add_i32 s33, s33, s3
	s_add_u32 s2, s2, s34
	s_addc_u32 s3, s35, s33
	v_mad_u64_u32 v[14:15], s[2:3], v2, 22, s[2:3]
	v_mov_b32_e32 v16, v15
	v_mad_u64_u32 v[16:17], s[2:3], v3, 22, v[16:17]
	v_mov_b32_e32 v15, v16
	v_add_co_u32_e32 v16, vcc, v14, v4
	global_load_dword v18, v[14:15], off
	global_load_ushort v19, v[14:15], off offset:4
	v_addc_co_u32_e32 v17, vcc, 0, v15, vcc
	global_load_ubyte v14, v[16:17], off offset:6
	s_add_u32 s14, s14, s5
	s_addc_u32 s15, s15, 0
	v_cmp_ge_i64_e32 vcc, s[14:15], v[0:1]
	s_and_b64 vcc, exec, vcc
	s_waitcnt vmcnt(2)
	v_cvt_f32_f16_e32 v15, v18
	s_waitcnt vmcnt(1)
	v_perm_b32 v16, v18, v19, s28
	v_lshrrev_b32_e32 v17, v4, v16
	v_lshrrev_b32_e32 v16, v5, v16
	s_waitcnt vmcnt(0)
	v_lshrrev_b16_e32 v18, 4, v14
	v_lshlrev_b32_e32 v17, 4, v17
	v_and_b32_e32 v16, 16, v16
	v_or_b32_e32 v18, -16, v18
	v_or_b32_e32 v14, -16, v14
	v_and_b32_e32 v17, 16, v17
	v_add_u32_sdwa v16, v16, sext(v18) dst_sel:DWORD dst_unused:UNUSED_PAD src0_sel:DWORD src1_sel:WORD_0
	v_add_u32_e32 v14, v14, v17
	v_cvt_f32_i32_e32 v16, v16
	v_cvt_f32_i32_e32 v14, v14
	v_mul_f32_e32 v16, v15, v16
	v_mul_f32_e32 v14, v15, v14
	global_store_dword v[10:11], v16, off
	global_store_dword v[10:11], v14, off offset:-64
	v_add_co_u32_e64 v10, s[2:3], s31, v10
	v_addc_co_u32_e64 v11, s[2:3], v11, v13, s[2:3]
	s_cbranch_vccz .LBB58_6
	s_branch .LBB58_3
.LBB58_7:
	s_endpgm
	.section	.rodata,"a",@progbits
	.p2align	6, 0x0
	.amdhsa_kernel _ZL16dequantize_blockILi32ELi2EXadL_ZL15dequantize_q5_0PKvliR15HIP_vector_typeIfLj2EEEEfEvS1_PT2_lllS2_IjLj3EElll
		.amdhsa_group_segment_fixed_size 0
		.amdhsa_private_segment_fixed_size 0
		.amdhsa_kernarg_size 336
		.amdhsa_user_sgpr_count 6
		.amdhsa_user_sgpr_private_segment_buffer 1
		.amdhsa_user_sgpr_dispatch_ptr 0
		.amdhsa_user_sgpr_queue_ptr 0
		.amdhsa_user_sgpr_kernarg_segment_ptr 1
		.amdhsa_user_sgpr_dispatch_id 0
		.amdhsa_user_sgpr_flat_scratch_init 0
		.amdhsa_user_sgpr_kernarg_preload_length 0
		.amdhsa_user_sgpr_kernarg_preload_offset 0
		.amdhsa_user_sgpr_private_segment_size 0
		.amdhsa_uses_dynamic_stack 0
		.amdhsa_system_sgpr_private_segment_wavefront_offset 0
		.amdhsa_system_sgpr_workgroup_id_x 1
		.amdhsa_system_sgpr_workgroup_id_y 1
		.amdhsa_system_sgpr_workgroup_id_z 1
		.amdhsa_system_sgpr_workgroup_info 0
		.amdhsa_system_vgpr_workitem_id 0
		.amdhsa_next_free_vgpr 20
		.amdhsa_next_free_sgpr 40
		.amdhsa_accum_offset 20
		.amdhsa_reserve_vcc 1
		.amdhsa_reserve_flat_scratch 0
		.amdhsa_float_round_mode_32 0
		.amdhsa_float_round_mode_16_64 0
		.amdhsa_float_denorm_mode_32 3
		.amdhsa_float_denorm_mode_16_64 3
		.amdhsa_dx10_clamp 1
		.amdhsa_ieee_mode 1
		.amdhsa_fp16_overflow 0
		.amdhsa_tg_split 0
		.amdhsa_exception_fp_ieee_invalid_op 0
		.amdhsa_exception_fp_denorm_src 0
		.amdhsa_exception_fp_ieee_div_zero 0
		.amdhsa_exception_fp_ieee_overflow 0
		.amdhsa_exception_fp_ieee_underflow 0
		.amdhsa_exception_fp_ieee_inexact 0
		.amdhsa_exception_int_div_zero 0
	.end_amdhsa_kernel
	.section	.text._ZL16dequantize_blockILi32ELi2EXadL_ZL15dequantize_q5_0PKvliR15HIP_vector_typeIfLj2EEEEfEvS1_PT2_lllS2_IjLj3EElll,"axG",@progbits,_ZL16dequantize_blockILi32ELi2EXadL_ZL15dequantize_q5_0PKvliR15HIP_vector_typeIfLj2EEEEfEvS1_PT2_lllS2_IjLj3EElll,comdat
.Lfunc_end58:
	.size	_ZL16dequantize_blockILi32ELi2EXadL_ZL15dequantize_q5_0PKvliR15HIP_vector_typeIfLj2EEEEfEvS1_PT2_lllS2_IjLj3EElll, .Lfunc_end58-_ZL16dequantize_blockILi32ELi2EXadL_ZL15dequantize_q5_0PKvliR15HIP_vector_typeIfLj2EEEEfEvS1_PT2_lllS2_IjLj3EElll
                                        ; -- End function
	.section	.AMDGPU.csdata,"",@progbits
; Kernel info:
; codeLenInByte = 788
; NumSgprs: 44
; NumVgprs: 20
; NumAgprs: 0
; TotalNumVgprs: 20
; ScratchSize: 0
; MemoryBound: 0
; FloatMode: 240
; IeeeMode: 1
; LDSByteSize: 0 bytes/workgroup (compile time only)
; SGPRBlocks: 5
; VGPRBlocks: 2
; NumSGPRsForWavesPerEU: 44
; NumVGPRsForWavesPerEU: 20
; AccumOffset: 20
; Occupancy: 8
; WaveLimiterHint : 0
; COMPUTE_PGM_RSRC2:SCRATCH_EN: 0
; COMPUTE_PGM_RSRC2:USER_SGPR: 6
; COMPUTE_PGM_RSRC2:TRAP_HANDLER: 0
; COMPUTE_PGM_RSRC2:TGID_X_EN: 1
; COMPUTE_PGM_RSRC2:TGID_Y_EN: 1
; COMPUTE_PGM_RSRC2:TGID_Z_EN: 1
; COMPUTE_PGM_RSRC2:TIDIG_COMP_CNT: 0
; COMPUTE_PGM_RSRC3_GFX90A:ACCUM_OFFSET: 4
; COMPUTE_PGM_RSRC3_GFX90A:TG_SPLIT: 0
	.section	.text._ZL16dequantize_blockILi32ELi2EXadL_ZL15dequantize_q5_1PKvliR15HIP_vector_typeIfLj2EEEEfEvS1_PT2_lllS2_IjLj3EElll,"axG",@progbits,_ZL16dequantize_blockILi32ELi2EXadL_ZL15dequantize_q5_1PKvliR15HIP_vector_typeIfLj2EEEEfEvS1_PT2_lllS2_IjLj3EElll,comdat
	.globl	_ZL16dequantize_blockILi32ELi2EXadL_ZL15dequantize_q5_1PKvliR15HIP_vector_typeIfLj2EEEEfEvS1_PT2_lllS2_IjLj3EElll ; -- Begin function _ZL16dequantize_blockILi32ELi2EXadL_ZL15dequantize_q5_1PKvliR15HIP_vector_typeIfLj2EEEEfEvS1_PT2_lllS2_IjLj3EElll
	.p2align	8
	.type	_ZL16dequantize_blockILi32ELi2EXadL_ZL15dequantize_q5_1PKvliR15HIP_vector_typeIfLj2EEEEfEvS1_PT2_lllS2_IjLj3EElll,@function
_ZL16dequantize_blockILi32ELi2EXadL_ZL15dequantize_q5_1PKvliR15HIP_vector_typeIfLj2EEEEfEvS1_PT2_lllS2_IjLj3EElll: ; @_ZL16dequantize_blockILi32ELi2EXadL_ZL15dequantize_q5_1PKvliR15HIP_vector_typeIfLj2EEEEfEvS1_PT2_lllS2_IjLj3EElll
; %bb.0:
	s_mov_b32 s10, s7
	s_load_dword s7, s[4:5], 0x5c
	s_load_dwordx4 s[0:3], s[4:5], 0x10
	s_add_u32 s24, s4, 0x50
	s_addc_u32 s25, s5, 0
	v_mov_b32_e32 v1, 0
	s_waitcnt lgkmcnt(0)
	s_and_b32 s7, s7, 0xffff
	v_mov_b32_e32 v2, s6
	v_mad_u64_u32 v[4:5], s[6:7], s7, v2, v[0:1]
	v_lshlrev_b64 v[0:1], 1, v[4:5]
	v_cmp_gt_i64_e32 vcc, s[0:1], v[0:1]
	s_and_saveexec_b64 s[6:7], vcc
	s_cbranch_execz .LBB59_7
; %bb.1:
	s_load_dwordx2 s[26:27], s[4:5], 0x20
	s_mov_b32 s11, 0
	v_pk_mov_b32 v[0:1], s[2:3], s[2:3] op_sel:[0,1]
	v_cmp_ge_i64_e32 vcc, s[10:11], v[0:1]
	s_cbranch_vccnz .LBB59_7
; %bb.2:
	s_load_dwordx4 s[20:23], s[4:5], 0x0
	s_load_dwordx8 s[12:19], s[4:5], 0x28
	s_load_dwordx2 s[6:7], s[4:5], 0x48
	s_mul_i32 s4, s3, s8
	s_mul_hi_u32 s5, s2, s8
	s_add_i32 s5, s5, s4
	s_mul_i32 s4, s2, s8
	s_add_u32 s4, s4, s10
	s_addc_u32 s5, s5, 0
	s_mul_i32 s5, s0, s5
	s_waitcnt lgkmcnt(0)
	s_mul_hi_u32 s15, s0, s4
	s_add_i32 s5, s15, s5
	s_mul_i32 s15, s1, s4
	v_lshrrev_b64 v[2:3], 4, v[4:5]
	s_add_i32 s5, s5, s15
	s_mul_i32 s4, s0, s4
	v_pk_mov_b32 v[0:1], s[26:27], s[26:27] op_sel:[0,1]
	s_load_dword s26, s[24:25], 0x4
	s_lshl_b64 s[4:5], s[4:5], 2
	v_lshlrev_b64 v[6:7], 7, v[2:3]
	v_and_b32_e32 v4, 15, v4
	v_mov_b32_e32 v8, s5
	v_add_co_u32_e32 v6, vcc, s4, v6
	v_addc_co_u32_e32 v7, vcc, v8, v7, vcc
	v_lshlrev_b32_e32 v8, 2, v4
	v_add_co_u32_e32 v6, vcc, v6, v8
	v_addc_co_u32_e32 v7, vcc, 0, v7, vcc
	v_mov_b32_e32 v8, s23
	v_add_co_u32_e32 v6, vcc, s22, v6
	s_waitcnt lgkmcnt(0)
	s_mul_i32 s4, s1, s26
	s_mul_hi_u32 s5, s0, s26
	s_mul_i32 s1, s2, s1
	s_mul_hi_u32 s15, s2, s0
	v_addc_co_u32_e32 v7, vcc, v7, v8, vcc
	s_add_i32 s5, s5, s4
	s_mul_i32 s4, s0, s26
	s_add_i32 s1, s15, s1
	s_mul_i32 s15, s3, s0
	s_mov_b32 s9, s11
	v_add_co_u32_e32 v6, vcc, 64, v6
	s_lshl_b64 s[4:5], s[4:5], 2
	s_add_i32 s1, s1, s15
	s_mul_i32 s0, s2, s0
	v_add_u32_e32 v5, 12, v4
	v_addc_co_u32_e32 v7, vcc, 0, v7, vcc
	s_lshl_b64 s[22:23], s[0:1], 2
	s_sub_i32 s27, 0, s14
	v_cmp_lt_i64_e64 s[0:1], s[8:9], v[0:1]
	v_mov_b32_e32 v12, s5
	v_pk_mov_b32 v[8:9], s[2:3], s[2:3] op_sel:[0,1]
	s_branch .LBB59_4
.LBB59_3:                               ;   in Loop: Header=BB59_4 Depth=1
	s_add_u32 s10, s10, s26
	v_add_co_u32_e32 v6, vcc, s4, v6
	s_addc_u32 s11, s11, 0
	v_addc_co_u32_e32 v7, vcc, v7, v12, vcc
	v_cmp_ge_i64_e32 vcc, s[10:11], v[8:9]
	s_cbranch_vccnz .LBB59_7
.LBB59_4:                               ; =>This Loop Header: Depth=1
                                        ;     Child Loop BB59_6 Depth 2
	s_andn2_b64 vcc, exec, s[0:1]
	s_cbranch_vccnz .LBB59_3
; %bb.5:                                ;   in Loop: Header=BB59_4 Depth=1
	s_load_dword s5, s[24:25], 0x8
	s_mul_i32 s2, s10, s17
	s_mul_hi_u32 s3, s10, s16
	s_add_i32 s2, s3, s2
	s_mul_i32 s3, s11, s16
	s_add_i32 s28, s2, s3
	s_waitcnt lgkmcnt(0)
	s_mul_i32 s2, s23, s5
	s_mul_hi_u32 s3, s22, s5
	s_add_i32 s2, s3, s2
	s_mul_i32 s29, s10, s16
	s_mul_i32 s30, s22, s5
	v_mov_b32_e32 v13, s2
	v_pk_mov_b32 v[10:11], v[6:7], v[6:7] op_sel:[0,1]
	s_mov_b64 s[14:15], s[8:9]
.LBB59_6:                               ;   Parent Loop BB59_4 Depth=1
                                        ; =>  This Inner Loop Header: Depth=2
	s_mul_hi_u32 s2, s12, s14
	s_add_i32 s2, s14, s2
	s_lshr_b32 s2, s2, s13
	s_mul_i32 s34, s27, s2
	s_mul_i32 s35, s2, s7
	s_mul_hi_u32 s36, s2, s6
	s_mul_i32 s2, s2, s6
	s_add_i32 s34, s14, s34
	s_add_i32 s35, s36, s35
	s_mul_hi_u32 s36, s2, 24
	s_mul_i32 s37, s34, s19
	s_mul_hi_u32 s38, s34, s18
	s_mul_i32 s35, s35, 24
	s_mul_i32 s2, s2, 24
	;; [unrolled: 1-line block ×3, first 2 shown]
	s_add_i32 s37, s38, s37
	s_add_i32 s36, s36, s35
	s_mul_hi_u32 s35, s34, 24
	s_add_u32 s2, s20, s2
	s_mul_i32 s37, s37, 24
	s_mul_i32 s34, s34, 24
	s_addc_u32 s36, s21, s36
	s_add_i32 s35, s35, s37
	s_mul_i32 s3, s28, 24
	s_mul_hi_u32 s31, s29, 24
	s_add_u32 s2, s2, s34
	s_mul_i32 s33, s29, 24
	s_addc_u32 s34, s36, s35
	s_add_i32 s31, s31, s3
	s_add_u32 s2, s2, s33
	s_addc_u32 s3, s34, s31
	v_mad_u64_u32 v[14:15], s[2:3], v2, 24, s[2:3]
	v_mov_b32_e32 v16, v15
	v_mad_u64_u32 v[16:17], s[2:3], v3, 24, v[16:17]
	v_mov_b32_e32 v15, v16
	global_load_ushort v18, v[14:15], off offset:4
	global_load_ushort v19, v[14:15], off offset:6
	v_add_co_u32_e32 v16, vcc, v14, v4
	v_addc_co_u32_e32 v17, vcc, 0, v15, vcc
	global_load_dword v20, v[14:15], off
	global_load_ubyte v21, v[16:17], off offset:8
	s_add_u32 s14, s14, s5
	s_addc_u32 s15, s15, 0
	v_cmp_ge_i64_e32 vcc, s[14:15], v[0:1]
	s_and_b64 vcc, exec, vcc
	s_waitcnt vmcnt(2)
	v_lshrrev_b16_e32 v14, 8, v19
	v_and_b32_e32 v15, 0xff, v19
	v_lshlrev_b32_e32 v14, 24, v14
	v_lshlrev_b32_e32 v15, 16, v15
	v_or3_b32 v14, v15, v18, v14
	s_waitcnt vmcnt(0)
	v_lshrrev_b16_e32 v17, 4, v21
	v_lshrrev_b32_e32 v15, v4, v14
	v_lshrrev_b32_e32 v14, v5, v14
	v_and_b32_e32 v16, 15, v21
	v_lshlrev_b32_e32 v15, 4, v15
	v_and_or_b32 v14, v14, 16, v17
	v_and_or_b32 v15, v15, 16, v16
	v_cvt_f32_ubyte0_e32 v14, v14
	v_cvt_f32_ubyte0_e32 v15, v15
	v_fma_mix_f32 v14, v20, v14, v20 op_sel:[0,0,1] op_sel_hi:[1,0,1]
	v_fma_mix_f32 v15, v20, v15, v20 op_sel:[0,0,1] op_sel_hi:[1,0,1]
	global_store_dword v[10:11], v14, off
	global_store_dword v[10:11], v15, off offset:-64
	v_add_co_u32_e64 v10, s[2:3], s30, v10
	v_addc_co_u32_e64 v11, s[2:3], v11, v13, s[2:3]
	s_cbranch_vccz .LBB59_6
	s_branch .LBB59_3
.LBB59_7:
	s_endpgm
	.section	.rodata,"a",@progbits
	.p2align	6, 0x0
	.amdhsa_kernel _ZL16dequantize_blockILi32ELi2EXadL_ZL15dequantize_q5_1PKvliR15HIP_vector_typeIfLj2EEEEfEvS1_PT2_lllS2_IjLj3EElll
		.amdhsa_group_segment_fixed_size 0
		.amdhsa_private_segment_fixed_size 0
		.amdhsa_kernarg_size 336
		.amdhsa_user_sgpr_count 6
		.amdhsa_user_sgpr_private_segment_buffer 1
		.amdhsa_user_sgpr_dispatch_ptr 0
		.amdhsa_user_sgpr_queue_ptr 0
		.amdhsa_user_sgpr_kernarg_segment_ptr 1
		.amdhsa_user_sgpr_dispatch_id 0
		.amdhsa_user_sgpr_flat_scratch_init 0
		.amdhsa_user_sgpr_kernarg_preload_length 0
		.amdhsa_user_sgpr_kernarg_preload_offset 0
		.amdhsa_user_sgpr_private_segment_size 0
		.amdhsa_uses_dynamic_stack 0
		.amdhsa_system_sgpr_private_segment_wavefront_offset 0
		.amdhsa_system_sgpr_workgroup_id_x 1
		.amdhsa_system_sgpr_workgroup_id_y 1
		.amdhsa_system_sgpr_workgroup_id_z 1
		.amdhsa_system_sgpr_workgroup_info 0
		.amdhsa_system_vgpr_workitem_id 0
		.amdhsa_next_free_vgpr 22
		.amdhsa_next_free_sgpr 39
		.amdhsa_accum_offset 24
		.amdhsa_reserve_vcc 1
		.amdhsa_reserve_flat_scratch 0
		.amdhsa_float_round_mode_32 0
		.amdhsa_float_round_mode_16_64 0
		.amdhsa_float_denorm_mode_32 3
		.amdhsa_float_denorm_mode_16_64 3
		.amdhsa_dx10_clamp 1
		.amdhsa_ieee_mode 1
		.amdhsa_fp16_overflow 0
		.amdhsa_tg_split 0
		.amdhsa_exception_fp_ieee_invalid_op 0
		.amdhsa_exception_fp_denorm_src 0
		.amdhsa_exception_fp_ieee_div_zero 0
		.amdhsa_exception_fp_ieee_overflow 0
		.amdhsa_exception_fp_ieee_underflow 0
		.amdhsa_exception_fp_ieee_inexact 0
		.amdhsa_exception_int_div_zero 0
	.end_amdhsa_kernel
	.section	.text._ZL16dequantize_blockILi32ELi2EXadL_ZL15dequantize_q5_1PKvliR15HIP_vector_typeIfLj2EEEEfEvS1_PT2_lllS2_IjLj3EElll,"axG",@progbits,_ZL16dequantize_blockILi32ELi2EXadL_ZL15dequantize_q5_1PKvliR15HIP_vector_typeIfLj2EEEEfEvS1_PT2_lllS2_IjLj3EElll,comdat
.Lfunc_end59:
	.size	_ZL16dequantize_blockILi32ELi2EXadL_ZL15dequantize_q5_1PKvliR15HIP_vector_typeIfLj2EEEEfEvS1_PT2_lllS2_IjLj3EElll, .Lfunc_end59-_ZL16dequantize_blockILi32ELi2EXadL_ZL15dequantize_q5_1PKvliR15HIP_vector_typeIfLj2EEEEfEvS1_PT2_lllS2_IjLj3EElll
                                        ; -- End function
	.section	.AMDGPU.csdata,"",@progbits
; Kernel info:
; codeLenInByte = 800
; NumSgprs: 43
; NumVgprs: 22
; NumAgprs: 0
; TotalNumVgprs: 22
; ScratchSize: 0
; MemoryBound: 0
; FloatMode: 240
; IeeeMode: 1
; LDSByteSize: 0 bytes/workgroup (compile time only)
; SGPRBlocks: 5
; VGPRBlocks: 2
; NumSGPRsForWavesPerEU: 43
; NumVGPRsForWavesPerEU: 22
; AccumOffset: 24
; Occupancy: 8
; WaveLimiterHint : 0
; COMPUTE_PGM_RSRC2:SCRATCH_EN: 0
; COMPUTE_PGM_RSRC2:USER_SGPR: 6
; COMPUTE_PGM_RSRC2:TRAP_HANDLER: 0
; COMPUTE_PGM_RSRC2:TGID_X_EN: 1
; COMPUTE_PGM_RSRC2:TGID_Y_EN: 1
; COMPUTE_PGM_RSRC2:TGID_Z_EN: 1
; COMPUTE_PGM_RSRC2:TIDIG_COMP_CNT: 0
; COMPUTE_PGM_RSRC3_GFX90A:ACCUM_OFFSET: 5
; COMPUTE_PGM_RSRC3_GFX90A:TG_SPLIT: 0
	.section	.text._ZL16dequantize_blockILi32ELi1EXadL_ZL15dequantize_q8_0PKvliR15HIP_vector_typeIfLj2EEEEfEvS1_PT2_lllS2_IjLj3EElll,"axG",@progbits,_ZL16dequantize_blockILi32ELi1EXadL_ZL15dequantize_q8_0PKvliR15HIP_vector_typeIfLj2EEEEfEvS1_PT2_lllS2_IjLj3EElll,comdat
	.globl	_ZL16dequantize_blockILi32ELi1EXadL_ZL15dequantize_q8_0PKvliR15HIP_vector_typeIfLj2EEEEfEvS1_PT2_lllS2_IjLj3EElll ; -- Begin function _ZL16dequantize_blockILi32ELi1EXadL_ZL15dequantize_q8_0PKvliR15HIP_vector_typeIfLj2EEEEfEvS1_PT2_lllS2_IjLj3EElll
	.p2align	8
	.type	_ZL16dequantize_blockILi32ELi1EXadL_ZL15dequantize_q8_0PKvliR15HIP_vector_typeIfLj2EEEEfEvS1_PT2_lllS2_IjLj3EElll,@function
_ZL16dequantize_blockILi32ELi1EXadL_ZL15dequantize_q8_0PKvliR15HIP_vector_typeIfLj2EEEEfEvS1_PT2_lllS2_IjLj3EElll: ; @_ZL16dequantize_blockILi32ELi1EXadL_ZL15dequantize_q8_0PKvliR15HIP_vector_typeIfLj2EEEEfEvS1_PT2_lllS2_IjLj3EElll
; %bb.0:
	s_mov_b32 s10, s7
	s_load_dword s7, s[4:5], 0x5c
	s_load_dwordx4 s[0:3], s[4:5], 0x10
	s_add_u32 s24, s4, 0x50
	s_addc_u32 s25, s5, 0
	v_mov_b32_e32 v1, 0
	s_waitcnt lgkmcnt(0)
	s_and_b32 s9, s7, 0xffff
	v_mov_b32_e32 v2, s6
	v_mad_u64_u32 v[4:5], s[12:13], s9, v2, v[0:1]
	v_lshlrev_b64 v[6:7], 1, v[4:5]
	v_cmp_gt_i64_e32 vcc, s[0:1], v[6:7]
	s_and_saveexec_b64 s[12:13], vcc
	s_cbranch_execz .LBB60_7
; %bb.1:
	s_load_dwordx2 s[28:29], s[4:5], 0x20
	s_mov_b32 s11, 0
	v_pk_mov_b32 v[2:3], s[2:3], s[2:3] op_sel:[0,1]
	v_cmp_ge_i64_e32 vcc, s[10:11], v[2:3]
	s_cbranch_vccnz .LBB60_7
; %bb.2:
	s_load_dwordx4 s[20:23], s[4:5], 0x0
	s_load_dwordx8 s[12:19], s[4:5], 0x28
	s_load_dwordx2 s[26:27], s[4:5], 0x48
	s_mul_i32 s4, s3, s8
	s_mul_hi_u32 s5, s2, s8
	s_add_i32 s5, s5, s4
	s_mul_i32 s4, s2, s8
	s_add_u32 s4, s4, s10
	s_addc_u32 s5, s5, 0
	s_mul_i32 s5, s0, s5
	s_waitcnt lgkmcnt(0)
	s_mul_hi_u32 s15, s0, s4
	s_add_i32 s5, s15, s5
	s_mul_i32 s15, s1, s4
	v_lshrrev_b64 v[4:5], 4, v[4:5]
	s_add_i32 s5, s5, s15
	s_mul_i32 s4, s0, s4
	s_lshl_b64 s[4:5], s[4:5], 2
	v_lshlrev_b64 v[8:9], 7, v[4:5]
	v_add_co_u32_e32 v7, vcc, s4, v8
	v_mov_b32_e32 v8, s7
	v_mad_legacy_u16 v0, s6, v8, v0
	v_pk_mov_b32 v[2:3], s[28:29], s[28:29] op_sel:[0,1]
	s_load_dword s28, s[24:25], 0x4
	v_mov_b32_e32 v1, s5
	v_and_b32_e32 v0, 15, v0
	v_addc_co_u32_e32 v1, vcc, v1, v9, vcc
	v_lshlrev_b32_e32 v0, 3, v0
	v_add_co_u32_e32 v0, vcc, v7, v0
	v_addc_co_u32_e32 v1, vcc, 0, v1, vcc
	v_mov_b32_e32 v7, s23
	v_add_co_u32_e32 v0, vcc, s22, v0
	s_mov_b32 s9, s11
	v_addc_co_u32_e32 v1, vcc, v7, v1, vcc
	s_waitcnt lgkmcnt(0)
	s_mul_i32 s4, s1, s28
	s_mul_hi_u32 s5, s0, s28
	s_mul_i32 s1, s2, s1
	s_mul_hi_u32 s6, s2, s0
	s_add_i32 s5, s5, s4
	s_mul_i32 s4, s0, s28
	s_add_i32 s1, s6, s1
	s_mul_i32 s6, s3, s0
	v_cmp_lt_i64_e32 vcc, s[8:9], v[2:3]
	s_lshl_b64 s[4:5], s[4:5], 2
	s_add_i32 s1, s1, s6
	s_mul_i32 s0, s2, s0
	v_cndmask_b32_e64 v10, 0, 1, vcc
	v_and_b32_e32 v6, 30, v6
	s_lshl_b64 s[6:7], s[0:1], 2
	s_sub_i32 s22, 0, s14
	v_mov_b32_e32 v7, s5
	v_pk_mov_b32 v[8:9], s[2:3], s[2:3] op_sel:[0,1]
	v_cmp_ne_u32_e64 s[0:1], 1, v10
	s_branch .LBB60_4
.LBB60_3:                               ;   in Loop: Header=BB60_4 Depth=1
	s_add_u32 s10, s10, s28
	v_add_co_u32_e32 v0, vcc, s4, v0
	s_addc_u32 s11, s11, 0
	v_addc_co_u32_e32 v1, vcc, v1, v7, vcc
	v_cmp_ge_i64_e32 vcc, s[10:11], v[8:9]
	s_cbranch_vccnz .LBB60_7
.LBB60_4:                               ; =>This Loop Header: Depth=1
                                        ;     Child Loop BB60_6 Depth 2
	s_and_b64 vcc, exec, s[0:1]
	s_cbranch_vccnz .LBB60_3
; %bb.5:                                ;   in Loop: Header=BB60_4 Depth=1
	s_load_dword s5, s[24:25], 0x8
	s_mul_i32 s2, s10, s17
	s_mul_hi_u32 s3, s10, s16
	s_add_i32 s2, s3, s2
	s_mul_i32 s3, s11, s16
	s_add_i32 s23, s2, s3
	s_waitcnt lgkmcnt(0)
	s_mul_i32 s2, s7, s5
	s_mul_hi_u32 s3, s6, s5
	s_add_i32 s2, s3, s2
	s_mul_i32 s29, s10, s16
	s_mul_i32 s30, s6, s5
	v_mov_b32_e32 v12, s2
	v_pk_mov_b32 v[10:11], v[0:1], v[0:1] op_sel:[0,1]
	s_mov_b64 s[14:15], s[8:9]
.LBB60_6:                               ;   Parent Loop BB60_4 Depth=1
                                        ; =>  This Inner Loop Header: Depth=2
	s_mul_hi_u32 s2, s12, s14
	s_add_i32 s2, s14, s2
	s_lshr_b32 s2, s2, s13
	s_mul_i32 s34, s22, s2
	s_mul_i32 s35, s2, s27
	s_mul_hi_u32 s36, s2, s26
	s_mul_i32 s2, s2, s26
	s_add_i32 s34, s14, s34
	s_add_i32 s35, s36, s35
	s_mul_hi_u32 s36, s2, 34
	s_mul_i32 s37, s34, s19
	s_mul_hi_u32 s38, s34, s18
	s_mul_i32 s35, s35, 34
	s_mul_i32 s2, s2, 34
	;; [unrolled: 1-line block ×3, first 2 shown]
	s_add_i32 s37, s38, s37
	s_add_i32 s36, s36, s35
	s_mul_hi_u32 s35, s34, 34
	s_add_u32 s2, s20, s2
	s_mul_i32 s37, s37, 34
	s_mul_i32 s34, s34, 34
	s_addc_u32 s36, s21, s36
	s_add_i32 s35, s35, s37
	s_mul_i32 s3, s23, 34
	s_mul_hi_u32 s31, s29, 34
	s_add_u32 s2, s2, s34
	s_mul_i32 s33, s29, 34
	s_addc_u32 s34, s36, s35
	s_add_i32 s31, s31, s3
	s_add_u32 s2, s2, s33
	s_addc_u32 s3, s34, s31
	v_mad_u64_u32 v[14:15], s[2:3], v4, 34, s[2:3]
	v_mov_b32_e32 v16, v15
	v_mad_u64_u32 v[16:17], s[2:3], v5, 34, v[16:17]
	v_mov_b32_e32 v15, v16
	v_add_co_u32_e32 v16, vcc, v14, v6
	v_addc_co_u32_e32 v17, vcc, 0, v15, vcc
	global_load_ushort v13, v[14:15], off
	global_load_ushort v18, v[16:17], off offset:2
	s_add_u32 s14, s14, s5
	s_addc_u32 s15, s15, 0
	v_cmp_ge_i64_e32 vcc, s[14:15], v[2:3]
	s_and_b64 vcc, exec, vcc
	s_waitcnt vmcnt(1)
	v_cvt_f32_f16_e32 v14, v13
	s_waitcnt vmcnt(0)
	v_bfe_i32 v13, v18, 0, 8
	v_ashrrev_i16_e32 v15, 8, v18
	v_cvt_f32_i32_sdwa v17, sext(v15) dst_sel:DWORD dst_unused:UNUSED_PAD src0_sel:WORD_0
	v_cvt_f32_i32_sdwa v16, sext(v13) dst_sel:DWORD dst_unused:UNUSED_PAD src0_sel:WORD_0
	v_pk_mul_f32 v[14:15], v[14:15], v[16:17] op_sel_hi:[0,1]
	global_store_dwordx2 v[10:11], v[14:15], off
	v_add_co_u32_e64 v10, s[2:3], s30, v10
	v_addc_co_u32_e64 v11, s[2:3], v11, v12, s[2:3]
	s_cbranch_vccz .LBB60_6
	s_branch .LBB60_3
.LBB60_7:
	s_endpgm
	.section	.rodata,"a",@progbits
	.p2align	6, 0x0
	.amdhsa_kernel _ZL16dequantize_blockILi32ELi1EXadL_ZL15dequantize_q8_0PKvliR15HIP_vector_typeIfLj2EEEEfEvS1_PT2_lllS2_IjLj3EElll
		.amdhsa_group_segment_fixed_size 0
		.amdhsa_private_segment_fixed_size 0
		.amdhsa_kernarg_size 336
		.amdhsa_user_sgpr_count 6
		.amdhsa_user_sgpr_private_segment_buffer 1
		.amdhsa_user_sgpr_dispatch_ptr 0
		.amdhsa_user_sgpr_queue_ptr 0
		.amdhsa_user_sgpr_kernarg_segment_ptr 1
		.amdhsa_user_sgpr_dispatch_id 0
		.amdhsa_user_sgpr_flat_scratch_init 0
		.amdhsa_user_sgpr_kernarg_preload_length 0
		.amdhsa_user_sgpr_kernarg_preload_offset 0
		.amdhsa_user_sgpr_private_segment_size 0
		.amdhsa_uses_dynamic_stack 0
		.amdhsa_system_sgpr_private_segment_wavefront_offset 0
		.amdhsa_system_sgpr_workgroup_id_x 1
		.amdhsa_system_sgpr_workgroup_id_y 1
		.amdhsa_system_sgpr_workgroup_id_z 1
		.amdhsa_system_sgpr_workgroup_info 0
		.amdhsa_system_vgpr_workitem_id 0
		.amdhsa_next_free_vgpr 19
		.amdhsa_next_free_sgpr 39
		.amdhsa_accum_offset 20
		.amdhsa_reserve_vcc 1
		.amdhsa_reserve_flat_scratch 0
		.amdhsa_float_round_mode_32 0
		.amdhsa_float_round_mode_16_64 0
		.amdhsa_float_denorm_mode_32 3
		.amdhsa_float_denorm_mode_16_64 3
		.amdhsa_dx10_clamp 1
		.amdhsa_ieee_mode 1
		.amdhsa_fp16_overflow 0
		.amdhsa_tg_split 0
		.amdhsa_exception_fp_ieee_invalid_op 0
		.amdhsa_exception_fp_denorm_src 0
		.amdhsa_exception_fp_ieee_div_zero 0
		.amdhsa_exception_fp_ieee_overflow 0
		.amdhsa_exception_fp_ieee_underflow 0
		.amdhsa_exception_fp_ieee_inexact 0
		.amdhsa_exception_int_div_zero 0
	.end_amdhsa_kernel
	.section	.text._ZL16dequantize_blockILi32ELi1EXadL_ZL15dequantize_q8_0PKvliR15HIP_vector_typeIfLj2EEEEfEvS1_PT2_lllS2_IjLj3EElll,"axG",@progbits,_ZL16dequantize_blockILi32ELi1EXadL_ZL15dequantize_q8_0PKvliR15HIP_vector_typeIfLj2EEEEfEvS1_PT2_lllS2_IjLj3EElll,comdat
.Lfunc_end60:
	.size	_ZL16dequantize_blockILi32ELi1EXadL_ZL15dequantize_q8_0PKvliR15HIP_vector_typeIfLj2EEEEfEvS1_PT2_lllS2_IjLj3EElll, .Lfunc_end60-_ZL16dequantize_blockILi32ELi1EXadL_ZL15dequantize_q8_0PKvliR15HIP_vector_typeIfLj2EEEEfEvS1_PT2_lllS2_IjLj3EElll
                                        ; -- End function
	.section	.AMDGPU.csdata,"",@progbits
; Kernel info:
; codeLenInByte = 744
; NumSgprs: 43
; NumVgprs: 19
; NumAgprs: 0
; TotalNumVgprs: 19
; ScratchSize: 0
; MemoryBound: 0
; FloatMode: 240
; IeeeMode: 1
; LDSByteSize: 0 bytes/workgroup (compile time only)
; SGPRBlocks: 5
; VGPRBlocks: 2
; NumSGPRsForWavesPerEU: 43
; NumVGPRsForWavesPerEU: 19
; AccumOffset: 20
; Occupancy: 8
; WaveLimiterHint : 0
; COMPUTE_PGM_RSRC2:SCRATCH_EN: 0
; COMPUTE_PGM_RSRC2:USER_SGPR: 6
; COMPUTE_PGM_RSRC2:TRAP_HANDLER: 0
; COMPUTE_PGM_RSRC2:TGID_X_EN: 1
; COMPUTE_PGM_RSRC2:TGID_Y_EN: 1
; COMPUTE_PGM_RSRC2:TGID_Z_EN: 1
; COMPUTE_PGM_RSRC2:TIDIG_COMP_CNT: 0
; COMPUTE_PGM_RSRC3_GFX90A:ACCUM_OFFSET: 4
; COMPUTE_PGM_RSRC3_GFX90A:TG_SPLIT: 0
	.section	.text._ZL13convert_unaryI14__hip_bfloat16fEvPKvPT0_lll15HIP_vector_typeIjLj3EElll,"axG",@progbits,_ZL13convert_unaryI14__hip_bfloat16fEvPKvPT0_lll15HIP_vector_typeIjLj3EElll,comdat
	.globl	_ZL13convert_unaryI14__hip_bfloat16fEvPKvPT0_lll15HIP_vector_typeIjLj3EElll ; -- Begin function _ZL13convert_unaryI14__hip_bfloat16fEvPKvPT0_lll15HIP_vector_typeIjLj3EElll
	.p2align	8
	.type	_ZL13convert_unaryI14__hip_bfloat16fEvPKvPT0_lll15HIP_vector_typeIjLj3EElll,@function
_ZL13convert_unaryI14__hip_bfloat16fEvPKvPT0_lll15HIP_vector_typeIjLj3EElll: ; @_ZL13convert_unaryI14__hip_bfloat16fEvPKvPT0_lll15HIP_vector_typeIjLj3EElll
; %bb.0:
	s_load_dword s0, s[4:5], 0x5c
	s_load_dwordx4 s[20:23], s[4:5], 0x10
	s_add_u32 s28, s4, 0x50
	s_addc_u32 s29, s5, 0
	v_mov_b32_e32 v1, 0
	s_waitcnt lgkmcnt(0)
	s_and_b32 s0, s0, 0xffff
	v_mov_b32_e32 v2, s6
	v_mad_u64_u32 v[2:3], s[0:1], s0, v2, v[0:1]
	v_cmp_gt_i64_e32 vcc, s[20:21], v[2:3]
	s_and_saveexec_b64 s[0:1], vcc
	s_cbranch_execz .LBB61_16
; %bb.1:
	s_mov_b32 s10, s7
	s_load_dwordx2 s[6:7], s[4:5], 0x20
	s_mov_b32 s11, 0
	v_pk_mov_b32 v[0:1], s[22:23], s[22:23] op_sel:[0,1]
	v_cmp_ge_i64_e32 vcc, s[10:11], v[0:1]
	s_cbranch_vccnz .LBB61_16
; %bb.2:
	s_load_dwordx4 s[24:27], s[4:5], 0x0
	s_load_dwordx8 s[12:19], s[4:5], 0x28
	s_load_dwordx2 s[30:31], s[4:5], 0x48
	s_waitcnt lgkmcnt(0)
	s_load_dword s15, s[28:29], 0x4
	v_lshlrev_b64 v[0:1], 2, v[2:3]
	s_mul_i32 s0, s22, s21
	s_mul_hi_u32 s1, s22, s20
	v_mov_b32_e32 v4, s27
	v_add_co_u32_e32 v0, vcc, s26, v0
	s_add_i32 s0, s1, s0
	s_mul_i32 s1, s23, s20
	s_mov_b32 s9, s11
	v_addc_co_u32_e32 v1, vcc, v4, v1, vcc
	v_pk_mov_b32 v[4:5], s[6:7], s[6:7] op_sel:[0,1]
	s_add_i32 s1, s0, s1
	s_mul_i32 s0, s22, s20
	s_mov_b32 s33, s8
	s_mov_b32 s44, s11
	;; [unrolled: 1-line block ×21, first 2 shown]
	s_lshl_b64 s[4:5], s[20:21], 2
	s_lshl_b64 s[20:21], s[0:1], 2
	s_sub_i32 s64, 0, s14
	v_cmp_lt_i64_e64 s[0:1], s[8:9], v[4:5]
	v_lshlrev_b64 v[2:3], 1, v[2:3]
	v_pk_mov_b32 v[4:5], s[22:23], s[22:23] op_sel:[0,1]
	v_mov_b32_e32 v10, 0x4f800000
	v_pk_mov_b32 v[6:7], s[6:7], s[6:7] op_sel:[0,1]
	s_mov_b64 s[26:27], s[10:11]
	s_branch .LBB61_4
.LBB61_3:                               ;   in Loop: Header=BB61_4 Depth=1
	s_waitcnt lgkmcnt(0)
	s_add_u32 s26, s26, s15
	s_addc_u32 s27, s27, 0
	v_cmp_ge_i64_e32 vcc, s[26:27], v[4:5]
	s_cbranch_vccnz .LBB61_16
.LBB61_4:                               ; =>This Loop Header: Depth=1
                                        ;     Child Loop BB61_10 Depth 2
                                        ;     Child Loop BB61_14 Depth 2
	s_andn2_b64 vcc, exec, s[0:1]
	s_cbranch_vccnz .LBB61_3
; %bb.5:                                ;   in Loop: Header=BB61_4 Depth=1
	s_load_dword s10, s[28:29], 0x8
	v_pk_mov_b32 v[8:9], s[6:7], s[6:7] op_sel:[0,1]
	s_waitcnt lgkmcnt(0)
	s_add_u32 s34, s8, s10
	s_addc_u32 s35, 0, 0
	v_pk_mov_b32 v[12:13], s[34:35], s[34:35] op_sel:[0,1]
	v_cmp_lt_i64_e64 s[2:3], s[34:35], v[8:9]
	v_cmp_gt_i64_e32 vcc, s[6:7], v[12:13]
	v_cndmask_b32_e64 v8, 0, 1, s[2:3]
	s_and_b64 s[36:37], vcc, exec
	s_cselect_b32 s37, s6, s34
	v_readfirstlane_b32 s38, v8
	s_cselect_b32 s36, s7, s35
	s_sub_u32 s37, s37, s38
	s_subb_u32 s36, s36, 0
	s_sub_u32 s38, s37, s34
	s_subb_u32 s35, s36, s35
	s_mov_b32 s34, s11
	s_cmp_lg_u64 s[34:35], 0
	s_cbranch_scc0 .LBB61_15
; %bb.6:                                ;   in Loop: Header=BB61_4 Depth=1
	v_cvt_f32_u32_e32 v8, s10
	s_sub_u32 s34, 0, s10
	s_subb_u32 s36, 0, 0
	v_mac_f32_e32 v8, 0, v10
	v_rcp_f32_e32 v8, v8
	v_mul_f32_e32 v8, 0x5f7ffffc, v8
	v_mul_f32_e32 v9, 0x2f800000, v8
	v_trunc_f32_e32 v9, v9
	v_mac_f32_e32 v8, 0xcf800000, v9
	v_cvt_u32_f32_e32 v9, v9
	v_cvt_u32_f32_e32 v8, v8
	v_readfirstlane_b32 s37, v9
	v_readfirstlane_b32 s39, v8
	s_mul_i32 s40, s34, s37
	s_mul_hi_u32 s42, s34, s39
	s_mul_i32 s41, s36, s39
	s_add_i32 s40, s42, s40
	s_mul_i32 s43, s34, s39
	s_add_i32 s40, s40, s41
	s_mul_hi_u32 s42, s39, s43
	s_mul_hi_u32 s41, s39, s40
	s_mul_i32 s39, s39, s40
	s_add_u32 s39, s42, s39
	s_addc_u32 s41, 0, s41
	s_mul_hi_u32 s65, s37, s43
	s_mul_i32 s43, s37, s43
	s_add_u32 s39, s39, s43
	s_mul_hi_u32 s42, s37, s40
	s_addc_u32 s39, s41, s65
	s_addc_u32 s41, s42, 0
	s_mul_i32 s40, s37, s40
	s_add_u32 s39, s39, s40
	s_addc_u32 s40, 0, s41
	v_add_co_u32_e32 v8, vcc, s39, v8
	s_cmp_lg_u64 vcc, 0
	s_addc_u32 s37, s37, s40
	v_readfirstlane_b32 s40, v8
	s_mul_i32 s39, s34, s37
	s_mul_hi_u32 s41, s34, s40
	s_add_i32 s39, s41, s39
	s_mul_i32 s36, s36, s40
	s_add_i32 s39, s39, s36
	s_mul_i32 s34, s34, s40
	s_mul_hi_u32 s41, s37, s34
	s_mul_i32 s42, s37, s34
	s_mul_i32 s65, s40, s39
	s_mul_hi_u32 s34, s40, s34
	s_mul_hi_u32 s43, s40, s39
	s_add_u32 s34, s34, s65
	s_addc_u32 s40, 0, s43
	s_add_u32 s34, s34, s42
	s_mul_hi_u32 s36, s37, s39
	s_addc_u32 s34, s40, s41
	s_addc_u32 s36, s36, 0
	s_mul_i32 s39, s37, s39
	s_add_u32 s34, s34, s39
	s_addc_u32 s36, 0, s36
	v_add_co_u32_e32 v8, vcc, s34, v8
	s_cmp_lg_u64 vcc, 0
	s_addc_u32 s34, s37, s36
	v_readfirstlane_b32 s39, v8
	s_mul_i32 s37, s38, s34
	s_mul_hi_u32 s40, s38, s39
	s_mul_hi_u32 s36, s38, s34
	s_add_u32 s37, s40, s37
	s_addc_u32 s36, 0, s36
	s_mul_hi_u32 s41, s35, s39
	s_mul_i32 s39, s35, s39
	s_add_u32 s37, s37, s39
	s_mul_hi_u32 s40, s35, s34
	s_addc_u32 s36, s36, s41
	s_addc_u32 s37, s40, 0
	s_mul_i32 s34, s35, s34
	s_add_u32 s34, s36, s34
	s_addc_u32 s36, 0, s37
	s_add_u32 s37, s34, 1
	s_addc_u32 s39, s36, 0
	s_add_u32 s40, s34, 2
	s_mul_i32 s42, s10, s36
	s_mul_hi_u32 s43, s10, s34
	s_addc_u32 s41, s36, 0
	s_add_i32 s43, s43, s42
	s_mul_i32 s42, s10, s34
	v_mov_b32_e32 v8, s42
	v_sub_co_u32_e32 v8, vcc, s38, v8
	s_cmp_lg_u64 vcc, 0
	s_subb_u32 s35, s35, s43
	v_subrev_co_u32_e32 v9, vcc, s10, v8
	s_cmp_lg_u64 vcc, 0
	s_subb_u32 s42, s35, 0
	v_readfirstlane_b32 s43, v9
	s_cmp_ge_u32 s43, s10
	s_cselect_b32 s43, -1, 0
	s_cmp_eq_u32 s42, 0
	s_cselect_b32 s42, s43, -1
	s_cmp_lg_u32 s42, 0
	s_cselect_b32 s40, s40, s37
	s_cselect_b32 s37, s41, s39
	v_readfirstlane_b32 s39, v8
	s_cmp_ge_u32 s39, s10
	s_cselect_b32 s39, -1, 0
	s_cmp_eq_u32 s35, 0
	s_cselect_b32 s35, s39, -1
	s_cmp_lg_u32 s35, 0
	s_cselect_b32 s37, s37, s36
	s_cselect_b32 s36, s40, s34
	s_cbranch_execnz .LBB61_8
.LBB61_7:                               ;   in Loop: Header=BB61_4 Depth=1
	v_cvt_f32_u32_e32 v8, s10
	s_sub_i32 s34, 0, s10
	v_rcp_iflag_f32_e32 v8, v8
	v_mul_f32_e32 v8, 0x4f7ffffe, v8
	v_cvt_u32_f32_e32 v8, v8
	v_readfirstlane_b32 s35, v8
	s_mul_i32 s34, s34, s35
	s_mul_hi_u32 s34, s35, s34
	s_add_i32 s35, s35, s34
	s_mul_hi_u32 s34, s38, s35
	s_mul_i32 s36, s34, s10
	s_sub_i32 s36, s38, s36
	s_add_i32 s35, s34, 1
	s_sub_i32 s37, s36, s10
	s_cmp_ge_u32 s36, s10
	s_cselect_b32 s34, s35, s34
	s_cselect_b32 s36, s37, s36
	s_add_i32 s35, s34, 1
	s_cmp_ge_u32 s36, s10
	s_cselect_b32 s36, s35, s34
	s_mov_b32 s37, s11
.LBB61_8:                               ;   in Loop: Header=BB61_4 Depth=1
	s_mul_i32 s34, s26, s17
	s_mul_hi_u32 s35, s26, s16
	s_add_i32 s34, s35, s34
	s_mul_i32 s35, s27, s16
	s_add_i32 s35, s34, s35
	s_and_b64 s[2:3], s[2:3], exec
	s_cselect_b32 s2, 2, 1
	s_add_u32 s36, s2, s36
	s_addc_u32 s37, 0, s37
	v_cmp_gt_u64_e64 s[38:39], s[36:37], 1
	s_mul_i32 s34, s26, s16
	s_mov_b64 s[2:3], -1
	s_and_b64 vcc, exec, s[38:39]
	s_mov_b64 s[40:41], s[8:9]
	s_cbranch_vccz .LBB61_12
; %bb.9:                                ;   in Loop: Header=BB61_4 Depth=1
	s_and_b32 s38, s36, -2
	s_add_u32 s65, s8, s10
	s_mov_b32 s39, s37
	s_addc_u32 s66, 0, 0
	s_lshl_b64 s[40:41], s[10:11], 1
	s_mov_b32 s67, s33
	s_mov_b32 s68, s44
	;; [unrolled: 1-line block ×6, first 2 shown]
	s_mov_b64 s[42:43], s[38:39]
.LBB61_10:                              ;   Parent Loop BB61_4 Depth=1
                                        ; =>  This Inner Loop Header: Depth=2
	s_mul_hi_u32 s2, s67, s45
	s_mul_hi_u32 s3, s65, s46
	s_mul_i32 s73, s65, s59
	s_mul_hi_u32 s74, s65, s58
	s_mul_i32 s76, s67, s57
	s_mul_hi_u32 s77, s67, s56
	s_add_i32 s3, s3, s65
	s_add_i32 s2, s2, s67
	s_mul_i32 s75, s66, s58
	s_add_i32 s73, s74, s73
	s_add_i32 s74, s77, s76
	s_lshr_b32 s76, s2, s47
	s_lshr_b32 s2, s3, s48
	s_mul_i32 s78, s68, s56
	s_add_i32 s73, s73, s75
	s_mul_i32 s3, s2, s49
	s_mul_i32 s75, s76, s14
	s_add_i32 s82, s74, s78
	s_mul_i32 s77, s51, s2
	s_mul_hi_u32 s78, s50, s2
	s_mul_i32 s79, s31, s76
	s_mul_hi_u32 s83, s30, s76
	s_mul_i32 s74, s30, s76
	s_sub_i32 s84, s67, s75
	s_sub_i32 s76, s65, s3
	s_add_i32 s3, s78, s77
	s_add_i32 s75, s83, s79
	s_mul_i32 s77, s55, s76
	s_mul_hi_u32 s79, s54, s76
	s_mul_i32 s83, s53, s84
	s_mul_hi_u32 s85, s52, s84
	s_mul_i32 s81, s67, s56
	s_add_i32 s77, s79, s77
	s_add_i32 s79, s85, s83
	s_mul_i32 s78, s52, s84
	s_add_u32 s84, s81, s26
	s_mul_i32 s80, s65, s58
	s_addc_u32 s81, s82, s27
	s_add_u32 s85, s80, s71
	s_mul_i32 s82, s84, s61
	s_mul_hi_u32 s83, s84, s60
	s_addc_u32 s73, s73, s72
	s_mul_i32 s80, s85, s63
	s_mul_hi_u32 s86, s85, s62
	s_mul_i32 s81, s81, s60
	s_add_i32 s82, s83, s82
	s_add_i32 s80, s86, s80
	s_mul_i32 s73, s73, s62
	s_lshl_b64 s[74:75], s[74:75], 1
	s_add_i32 s81, s82, s81
	s_add_i32 s83, s80, s73
	s_mul_i32 s2, s50, s2
	s_add_u32 s73, s24, s74
	s_addc_u32 s74, s25, s75
	s_lshl_b64 s[2:3], s[2:3], 1
	s_add_u32 s75, s24, s2
	s_addc_u32 s80, s25, s3
	s_lshl_b64 s[2:3], s[78:79], 1
	s_mul_i32 s76, s54, s76
	s_add_u32 s73, s73, s2
	s_addc_u32 s74, s74, s3
	s_lshl_b64 s[2:3], s[76:77], 1
	s_add_u32 s75, s75, s2
	s_addc_u32 s76, s80, s3
	s_lshl_b64 s[2:3], s[34:35], 1
	s_add_u32 s73, s73, s2
	s_addc_u32 s74, s74, s3
	s_add_u32 s2, s75, s2
	v_mov_b32_e32 v9, s74
	v_add_co_u32_e32 v8, vcc, s73, v2
	s_addc_u32 s3, s76, s3
	v_addc_co_u32_e32 v9, vcc, v9, v3, vcc
	v_mov_b32_e32 v11, s3
	global_load_ushort v14, v[8:9], off
	v_add_co_u32_e32 v8, vcc, s2, v2
	v_addc_co_u32_e32 v9, vcc, v11, v3, vcc
	global_load_ushort v11, v[8:9], off
	s_mul_i32 s80, s84, s60
	s_mul_i32 s82, s85, s62
	s_lshl_b64 s[2:3], s[80:81], 2
	s_lshl_b64 s[74:75], s[82:83], 2
	s_add_u32 s65, s65, s69
	s_addc_u32 s66, s66, s70
	s_add_u32 s67, s67, s40
	s_addc_u32 s68, s68, s41
	s_add_u32 s42, s42, -2
	v_mov_b32_e32 v9, s3
	v_mov_b32_e32 v15, s75
	v_add_co_u32_e32 v8, vcc, s74, v0
	v_add_co_u32_e64 v12, s[2:3], s2, v0
	s_addc_u32 s43, s43, -1
	v_addc_co_u32_e64 v13, s[2:3], v1, v9, s[2:3]
	v_addc_co_u32_e32 v9, vcc, v1, v15, vcc
	s_cmp_lg_u64 s[42:43], 0
	s_waitcnt vmcnt(1)
	v_lshlrev_b32_e32 v14, 16, v14
	global_store_dword v[12:13], v14, off
	s_waitcnt vmcnt(1)
	v_lshlrev_b32_e32 v11, 16, v11
	global_store_dword v[8:9], v11, off
	s_cbranch_scc1 .LBB61_10
; %bb.11:                               ;   in Loop: Header=BB61_4 Depth=1
	s_mul_i32 s2, s39, s10
	s_mul_hi_u32 s3, s38, s10
	s_add_i32 s3, s3, s2
	s_mul_i32 s2, s38, s10
	s_add_u32 s40, s2, s8
	s_addc_u32 s41, s3, 0
	s_cmp_lg_u64 s[36:37], s[38:39]
	s_cselect_b64 s[2:3], -1, 0
.LBB61_12:                              ;   in Loop: Header=BB61_4 Depth=1
	s_and_b64 vcc, exec, s[2:3]
	s_cbranch_vccz .LBB61_3
; %bb.13:                               ;   in Loop: Header=BB61_4 Depth=1
	s_mul_i32 s2, s22, s41
	s_mul_hi_u32 s3, s22, s40
	s_add_i32 s2, s3, s2
	s_mul_i32 s3, s23, s40
	s_add_i32 s2, s2, s3
	s_mul_i32 s3, s22, s40
	s_add_u32 s3, s26, s3
	s_addc_u32 s2, s27, s2
	s_mul_i32 s36, s5, s3
	s_mul_i32 s2, s4, s2
	v_mov_b32_e32 v8, s3
	s_add_i32 s36, s2, s36
	v_mad_u64_u32 v[8:9], s[2:3], s4, v8, v[0:1]
	s_mul_i32 s2, s21, s10
	s_mul_hi_u32 s3, s20, s10
	s_add_i32 s2, s3, s2
	v_add_u32_e32 v9, s36, v9
	s_mul_i32 s36, s20, s10
	v_mov_b32_e32 v11, s2
.LBB61_14:                              ;   Parent Loop BB61_4 Depth=1
                                        ; =>  This Inner Loop Header: Depth=2
	s_mul_hi_u32 s2, s12, s40
	s_add_i32 s2, s40, s2
	s_lshr_b32 s2, s2, s13
	s_mul_i32 s3, s64, s2
	s_mul_i32 s37, s2, s31
	s_mul_hi_u32 s38, s2, s30
	s_add_i32 s39, s40, s3
	s_mul_i32 s2, s2, s30
	s_add_i32 s3, s38, s37
	s_mul_i32 s37, s39, s19
	s_mul_hi_u32 s42, s39, s18
	s_mul_i32 s38, s39, s18
	s_lshl_b64 s[2:3], s[2:3], 1
	s_add_i32 s39, s42, s37
	s_add_u32 s37, s24, s2
	s_addc_u32 s42, s25, s3
	s_lshl_b64 s[2:3], s[38:39], 1
	s_add_u32 s37, s37, s2
	s_addc_u32 s38, s42, s3
	s_lshl_b64 s[2:3], s[34:35], 1
	s_add_u32 s2, s37, s2
	s_addc_u32 s3, s38, s3
	v_mov_b32_e32 v13, s3
	v_add_co_u32_e32 v12, vcc, s2, v2
	v_addc_co_u32_e32 v13, vcc, v13, v3, vcc
	global_load_ushort v12, v[12:13], off
	s_add_u32 s40, s40, s10
	s_addc_u32 s41, s41, 0
	v_cmp_ge_i64_e32 vcc, s[40:41], v[6:7]
	s_and_b64 vcc, exec, vcc
	s_waitcnt vmcnt(0)
	v_lshlrev_b32_e32 v12, 16, v12
	global_store_dword v[8:9], v12, off
	v_add_co_u32_e64 v8, s[2:3], s36, v8
	v_addc_co_u32_e64 v9, s[2:3], v9, v11, s[2:3]
	s_cbranch_vccz .LBB61_14
	s_branch .LBB61_3
.LBB61_15:                              ;   in Loop: Header=BB61_4 Depth=1
                                        ; implicit-def: $sgpr36_sgpr37
	s_branch .LBB61_7
.LBB61_16:
	s_endpgm
	.section	.rodata,"a",@progbits
	.p2align	6, 0x0
	.amdhsa_kernel _ZL13convert_unaryI14__hip_bfloat16fEvPKvPT0_lll15HIP_vector_typeIjLj3EElll
		.amdhsa_group_segment_fixed_size 0
		.amdhsa_private_segment_fixed_size 0
		.amdhsa_kernarg_size 336
		.amdhsa_user_sgpr_count 6
		.amdhsa_user_sgpr_private_segment_buffer 1
		.amdhsa_user_sgpr_dispatch_ptr 0
		.amdhsa_user_sgpr_queue_ptr 0
		.amdhsa_user_sgpr_kernarg_segment_ptr 1
		.amdhsa_user_sgpr_dispatch_id 0
		.amdhsa_user_sgpr_flat_scratch_init 0
		.amdhsa_user_sgpr_kernarg_preload_length 0
		.amdhsa_user_sgpr_kernarg_preload_offset 0
		.amdhsa_user_sgpr_private_segment_size 0
		.amdhsa_uses_dynamic_stack 0
		.amdhsa_system_sgpr_private_segment_wavefront_offset 0
		.amdhsa_system_sgpr_workgroup_id_x 1
		.amdhsa_system_sgpr_workgroup_id_y 1
		.amdhsa_system_sgpr_workgroup_id_z 1
		.amdhsa_system_sgpr_workgroup_info 0
		.amdhsa_system_vgpr_workitem_id 0
		.amdhsa_next_free_vgpr 16
		.amdhsa_next_free_sgpr 87
		.amdhsa_accum_offset 16
		.amdhsa_reserve_vcc 1
		.amdhsa_reserve_flat_scratch 0
		.amdhsa_float_round_mode_32 0
		.amdhsa_float_round_mode_16_64 0
		.amdhsa_float_denorm_mode_32 3
		.amdhsa_float_denorm_mode_16_64 3
		.amdhsa_dx10_clamp 1
		.amdhsa_ieee_mode 1
		.amdhsa_fp16_overflow 0
		.amdhsa_tg_split 0
		.amdhsa_exception_fp_ieee_invalid_op 0
		.amdhsa_exception_fp_denorm_src 0
		.amdhsa_exception_fp_ieee_div_zero 0
		.amdhsa_exception_fp_ieee_overflow 0
		.amdhsa_exception_fp_ieee_underflow 0
		.amdhsa_exception_fp_ieee_inexact 0
		.amdhsa_exception_int_div_zero 0
	.end_amdhsa_kernel
	.section	.text._ZL13convert_unaryI14__hip_bfloat16fEvPKvPT0_lll15HIP_vector_typeIjLj3EElll,"axG",@progbits,_ZL13convert_unaryI14__hip_bfloat16fEvPKvPT0_lll15HIP_vector_typeIjLj3EElll,comdat
.Lfunc_end61:
	.size	_ZL13convert_unaryI14__hip_bfloat16fEvPKvPT0_lll15HIP_vector_typeIjLj3EElll, .Lfunc_end61-_ZL13convert_unaryI14__hip_bfloat16fEvPKvPT0_lll15HIP_vector_typeIjLj3EElll
                                        ; -- End function
	.section	.AMDGPU.csdata,"",@progbits
; Kernel info:
; codeLenInByte = 1824
; NumSgprs: 91
; NumVgprs: 16
; NumAgprs: 0
; TotalNumVgprs: 16
; ScratchSize: 0
; MemoryBound: 0
; FloatMode: 240
; IeeeMode: 1
; LDSByteSize: 0 bytes/workgroup (compile time only)
; SGPRBlocks: 11
; VGPRBlocks: 1
; NumSGPRsForWavesPerEU: 91
; NumVGPRsForWavesPerEU: 16
; AccumOffset: 16
; Occupancy: 8
; WaveLimiterHint : 0
; COMPUTE_PGM_RSRC2:SCRATCH_EN: 0
; COMPUTE_PGM_RSRC2:USER_SGPR: 6
; COMPUTE_PGM_RSRC2:TRAP_HANDLER: 0
; COMPUTE_PGM_RSRC2:TGID_X_EN: 1
; COMPUTE_PGM_RSRC2:TGID_Y_EN: 1
; COMPUTE_PGM_RSRC2:TGID_Z_EN: 1
; COMPUTE_PGM_RSRC2:TIDIG_COMP_CNT: 0
; COMPUTE_PGM_RSRC3_GFX90A:ACCUM_OFFSET: 3
; COMPUTE_PGM_RSRC3_GFX90A:TG_SPLIT: 0
	.text
	.p2alignl 6, 3212836864
	.fill 256, 4, 3212836864
	.type	_ZL11iq2xxs_grid,@object        ; @_ZL11iq2xxs_grid
	.section	.rodata,"a",@progbits
	.p2align	4, 0x0
_ZL11iq2xxs_grid:
	.quad	578721382704613384              ; 0x808080808080808
	.quad	578721382704613419              ; 0x80808080808082b
	;; [unrolled: 1-line block ×132, first 2 shown]
	.quad	1803700481349388313             ; 0x1908080808080819
	.quad	1803700481349392648             ; 0x1908080808081908
	;; [unrolled: 1-line block ×124, first 2 shown]
	.size	_ZL11iq2xxs_grid, 2048

	.type	_ZL12ksigns_iq2xs,@object       ; @_ZL12ksigns_iq2xs
	.p2align	4, 0x0
_ZL12ksigns_iq2xs:
	.ascii	"\000\201\202\003\204\005\006\207\210\t\n\213\f\215\216\017\220\021\022\223\024\225\226\027\030\231\232\033\234\035\036\237\240!\"\243$\245\246'(\251\252+\254-.\2570\261\2623\26456\267\2709:\273<\275\276?\300AB\303D\305\306GH\311\312K\314MN\317P\321\322S\324UV\327\330YZ\333\\\335\336_`\341\342c\344ef\347\350ij\353l\355\356o\360qr\363t\365\366wx\371\372{\374}~\377"
	.size	_ZL12ksigns_iq2xs, 128

	.type	_ZL10iq2xs_grid,@object         ; @_ZL10iq2xs_grid
	.p2align	4, 0x0
_ZL10iq2xs_grid:
	.quad	578721382704613384              ; 0x808080808080808
	.quad	578721382704613419              ; 0x80808080808082b
	;; [unrolled: 1-line block ×254, first 2 shown]
	.quad	1803700481349388313             ; 0x1908080808080819
	.quad	1803700481349392648             ; 0x1908080808081908
	;; [unrolled: 1-line block ×258, first 2 shown]
	.size	_ZL10iq2xs_grid, 4096

	.type	_ZL9iq2s_grid,@object           ; @_ZL9iq2s_grid
	.p2align	4, 0x0
_ZL9iq2s_grid:
	.quad	578721382704613384              ; 0x808080808080808
	.quad	578721382704613419              ; 0x80808080808082b
	;; [unrolled: 1-line block ×471, first 2 shown]
	.quad	1803700481349388313             ; 0x1908080808080819
	.quad	1803700481349392648             ; 0x1908080808081908
	;; [unrolled: 1-line block ×553, first 2 shown]
	.size	_ZL9iq2s_grid, 8192

	.type	_ZL11iq3xxs_grid,@object        ; @_ZL11iq3xxs_grid
	.p2align	4, 0x0
_ZL11iq3xxs_grid:
	.long	67372036                        ; 0x4040404
	.long	67372052                        ; 0x4040414
	;; [unrolled: 1-line block ×58, first 2 shown]
	.long	201589772                       ; 0xc04040c
	.long	201589788                       ; 0xc04041c
	;; [unrolled: 1-line block ×177, first 2 shown]
	.long	1040450588                      ; 0x3e04041c
	.long	1040450604                      ; 0x3e04042c
	;; [unrolled: 1-line block ×21, first 2 shown]
	.size	_ZL11iq3xxs_grid, 1024

	.type	_ZL13iq1s_grid_gpu,@object      ; @_ZL13iq1s_grid_gpu
	.p2align	4, 0x0
_ZL13iq1s_grid_gpu:
	.long	0                               ; 0x0
	.long	2                               ; 0x2
	.long	257                             ; 0x101
	.long	512                             ; 0x200
	;; [unrolled: 1-line block ×3, first 2 shown]
	.long	65537                           ; 0x10001
	.long	65793                           ; 0x10101
	.long	131072                          ; 0x20000
	.long	131074                          ; 0x20002
	;; [unrolled: 1-line block ×4, first 2 shown]
	.long	16777473                        ; 0x1000101
	.long	16842753                        ; 0x1010001
	;; [unrolled: 1-line block ×14, first 2 shown]
	.long	272                             ; 0x110
	.long	273                             ; 0x111
	.long	65553                           ; 0x10011
	.long	65808                           ; 0x10110
	;; [unrolled: 1-line block ×5, first 2 shown]
	.long	131345                          ; 0x20111
	.long	16777233                        ; 0x1000011
	.long	16777490                        ; 0x1000112
	;; [unrolled: 1-line block ×15, first 2 shown]
	.long	32                              ; 0x20
	.long	34                              ; 0x22
	.long	544                             ; 0x220
	.long	546                             ; 0x222
	.long	65825                           ; 0x10121
	.long	131104                          ; 0x20020
	.long	131106                          ; 0x20022
	;; [unrolled: 1-line block ×4, first 2 shown]
	.long	16777505                        ; 0x1000121
	.long	16842785                        ; 0x1010021
	;; [unrolled: 1-line block ×16, first 2 shown]
	.long	69633                           ; 0x11001
	.long	69888                           ; 0x11100
	.long	69890                           ; 0x11102
	.long	135425                          ; 0x21101
	.long	16781313                        ; 0x1001001
	.long	16781825                        ; 0x1001201
	;; [unrolled: 1-line block ×9, first 2 shown]
	.long	4113                            ; 0x1011
	.long	4368                            ; 0x1110
	;; [unrolled: 1-line block ×4, first 2 shown]
	.long	69905                           ; 0x11111
	.long	70160                           ; 0x11210
	;; [unrolled: 1-line block ×3, first 2 shown]
	.long	135697                          ; 0x21211
	.long	16781328                        ; 0x1001010
	.long	16781585                        ; 0x1001111
	;; [unrolled: 1-line block ×24, first 2 shown]
	.long	69920                           ; 0x11120
	.long	70177                           ; 0x11221
	.long	16781345                        ; 0x1001021
	.long	16781600                        ; 0x1001120
	;; [unrolled: 1-line block ×14, first 2 shown]
	.long	8192                            ; 0x2000
	.long	8194                            ; 0x2002
	;; [unrolled: 1-line block ×4, first 2 shown]
	.long	73985                           ; 0x12101
	.long	139264                          ; 0x22000
	.long	139266                          ; 0x22002
	;; [unrolled: 1-line block ×4, first 2 shown]
	.long	16785665                        ; 0x1002101
	.long	16850945                        ; 0x1012001
	;; [unrolled: 1-line block ×13, first 2 shown]
	.long	8465                            ; 0x2111
	.long	73745                           ; 0x12011
	.long	74000                           ; 0x12110
	;; [unrolled: 1-line block ×3, first 2 shown]
	.long	139536                          ; 0x22110
	.long	139537                          ; 0x22111
	.long	16785425                        ; 0x1002011
	.long	16850960                        ; 0x1012010
	;; [unrolled: 1-line block ×12, first 2 shown]
	.long	8224                            ; 0x2020
	.long	8226                            ; 0x2022
	;; [unrolled: 1-line block ×4, first 2 shown]
	.long	74017                           ; 0x12121
	.long	139296                          ; 0x22020
	.long	139298                          ; 0x22022
	.long	139808                          ; 0x22220
	.long	139810                          ; 0x22222
	.long	16785697                        ; 0x1002121
	.long	16850977                        ; 0x1012021
	.long	16851489                        ; 0x1012221
	.long	16916513                        ; 0x1022021
	.long	16916769                        ; 0x1022121
	.long	33562656                        ; 0x2002020
	.long	33562658                        ; 0x2002022
	.long	33562913                        ; 0x2002121
	.long	33563168                        ; 0x2002220
	.long	33563170                        ; 0x2002222
	.long	33628449                        ; 0x2012121
	.long	33693728                        ; 0x2022020
	.long	33693730                        ; 0x2022022
	.long	33694240                        ; 0x2022220
	.long	33694242                        ; 0x2022222
	.long	1114112                         ; 0x110000
	.long	1114113                         ; 0x110001
	;; [unrolled: 1-line block ×6, first 2 shown]
	.long	17825793                        ; 0x1100001
	.long	17826048                        ; 0x1100100
	;; [unrolled: 1-line block ×14, first 2 shown]
	.long	1048593                         ; 0x100011
	.long	1048848                         ; 0x100110
	;; [unrolled: 1-line block ×11, first 2 shown]
	.long	17826065                        ; 0x1100111
	.long	17826322                        ; 0x1100212
	;; [unrolled: 1-line block ×16, first 2 shown]
	.long	1114145                         ; 0x110021
	.long	1114400                         ; 0x110120
	;; [unrolled: 1-line block ×4, first 2 shown]
	.long	17825824                        ; 0x1100020
	.long	17826082                        ; 0x1100122
	;; [unrolled: 1-line block ×14, first 2 shown]
	.long	1052673                         ; 0x101001
	.long	1052930                         ; 0x101102
	;; [unrolled: 1-line block ×9, first 2 shown]
	.long	17829889                        ; 0x1101001
	.long	17830145                        ; 0x1101101
	;; [unrolled: 1-line block ×25, first 2 shown]
	.long	1052690                         ; 0x101012
	.long	1052945                         ; 0x101111
	;; [unrolled: 1-line block ×13, first 2 shown]
	.long	17829905                        ; 0x1101011
	.long	17830160                        ; 0x1101110
	;; [unrolled: 1-line block ×32, first 2 shown]
	.long	1052705                         ; 0x101021
	.long	1052960                         ; 0x101120
	;; [unrolled: 1-line block ×10, first 2 shown]
	.long	17829920                        ; 0x1101020
	.long	17829922                        ; 0x1101022
	;; [unrolled: 1-line block ×23, first 2 shown]
	.long	1122305                         ; 0x112001
	.long	1122562                         ; 0x112102
	;; [unrolled: 1-line block ×3, first 2 shown]
	.long	17833985                        ; 0x1102001
	.long	17834240                        ; 0x1102100
	;; [unrolled: 1-line block ×17, first 2 shown]
	.long	1122320                         ; 0x112010
	.long	1122322                         ; 0x112012
	;; [unrolled: 1-line block ×6, first 2 shown]
	.long	17834002                        ; 0x1102012
	.long	17834256                        ; 0x1102110
	;; [unrolled: 1-line block ×21, first 2 shown]
	.long	1057313                         ; 0x102221
	.long	1122594                         ; 0x112122
	;; [unrolled: 1-line block ×4, first 2 shown]
	.long	17834272                        ; 0x1102120
	.long	17834274                        ; 0x1102122
	;; [unrolled: 1-line block ×14, first 2 shown]
	.long	2097152                         ; 0x200000
	.long	2097154                         ; 0x200002
	;; [unrolled: 1-line block ×10, first 2 shown]
	.long	18874625                        ; 0x1200101
	.long	18939905                        ; 0x1210001
	;; [unrolled: 1-line block ×15, first 2 shown]
	.long	2097425                         ; 0x200111
	.long	2162705                         ; 0x210011
	;; [unrolled: 1-line block ×5, first 2 shown]
	.long	18874386                        ; 0x1200012
	.long	18874640                        ; 0x1200110
	;; [unrolled: 1-line block ×15, first 2 shown]
	.long	2097185                         ; 0x200021
	.long	2097696                         ; 0x200220
	;; [unrolled: 1-line block ×9, first 2 shown]
	.long	18874657                        ; 0x1200121
	.long	18939937                        ; 0x1210021
	;; [unrolled: 1-line block ×14, first 2 shown]
	.long	2101505                         ; 0x201101
	.long	2167040                         ; 0x211100
	;; [unrolled: 1-line block ×5, first 2 shown]
	.long	18878720                        ; 0x1201100
	.long	18878721                        ; 0x1201101
	;; [unrolled: 1-line block ×15, first 2 shown]
	.long	2101777                         ; 0x201211
	.long	2167057                         ; 0x211111
	.long	2232337                         ; 0x221011
	.long	2232849                         ; 0x221211
	.long	18878480                        ; 0x1201010
	.long	18878737                        ; 0x1201111
	.long	18878992                        ; 0x1201210
	.long	18944017                        ; 0x1211011
	.long	18944272                        ; 0x1211110
	.long	18944273                        ; 0x1211111
	.long	18944529                        ; 0x1211211
	.long	19009554                        ; 0x1221012
	.long	19009809                        ; 0x1221111
	.long	19010064                        ; 0x1221210
	.long	35656209                        ; 0x2201211
	.long	35721232                        ; 0x2211010
	.long	35721488                        ; 0x2211110
	.long	35721489                        ; 0x2211111
	.long	35721744                        ; 0x2211210
	.long	35721746                        ; 0x2211212
	.long	35786769                        ; 0x2221011
	.long	35787024                        ; 0x2221110
	.long	35787026                        ; 0x2221112
	.long	35787281                        ; 0x2221211
	.long	2101537                         ; 0x201121
	.long	2166816                         ; 0x211020
	;; [unrolled: 1-line block ×5, first 2 shown]
	.long	18878497                        ; 0x1201021
	.long	18879009                        ; 0x1201221
	.long	18944289                        ; 0x1211121
	.long	19009568                        ; 0x1221020
	.long	19009569                        ; 0x1221021
	.long	19010081                        ; 0x1221221
	.long	35655968                        ; 0x2201120
	.long	35655970                        ; 0x2201122
	.long	35721248                        ; 0x2211020
	.long	35721762                        ; 0x2211222
	.long	2105344                         ; 0x202000
	.long	2105346                         ; 0x202002
	;; [unrolled: 1-line block ×9, first 2 shown]
	.long	18882817                        ; 0x1202101
	.long	18948097                        ; 0x1212001
	;; [unrolled: 1-line block ×12, first 2 shown]
	.long	2105873                         ; 0x202211
	.long	2170897                         ; 0x212011
	;; [unrolled: 1-line block ×5, first 2 shown]
	.long	18882834                        ; 0x1202112
	.long	18883089                        ; 0x1202211
	;; [unrolled: 1-line block ×14, first 2 shown]
	.long	2105376                         ; 0x202020
	.long	2105378                         ; 0x202022
	;; [unrolled: 1-line block ×8, first 2 shown]
	.long	18882849                        ; 0x1202121
	.long	18948129                        ; 0x1212021
	;; [unrolled: 1-line block ×14, first 2 shown]
	.long	268435713                       ; 0x10000101
	.long	268500993                       ; 0x10010001
	;; [unrolled: 1-line block ×1419, first 2 shown]
	.size	_ZL13iq1s_grid_gpu, 8192

	.type	_ZL13kvalues_iq4nl,@object      ; @_ZL13kvalues_iq4nl
	.section	.rodata.cst16,"aM",@progbits,16
	.p2align	4, 0x0
_ZL13kvalues_iq4nl:
	.ascii	"\201\230\255\277\317\335\352\366\001\r\031&5EYq"
	.size	_ZL13kvalues_iq4nl, 16

	.type	_ZL9iq3s_grid,@object           ; @_ZL9iq3s_grid
	.section	.rodata,"a",@progbits
	.p2align	4, 0x0
_ZL9iq3s_grid:
	.long	16843009                        ; 0x1010101
	.long	16843011                        ; 0x1010103
	;; [unrolled: 1-line block ×281, first 2 shown]
	.long	117506309                       ; 0x7010105
	.long	117506819                       ; 0x7010303
	;; [unrolled: 1-line block ×231, first 2 shown]
	.size	_ZL9iq3s_grid, 2048

	.type	_ZL13kvalues_mxfp4,@object      ; @_ZL13kvalues_mxfp4
	.section	.rodata.cst16,"aM",@progbits,16
	.p2align	4, 0x0
_ZL13kvalues_mxfp4:
	.ascii	"\000\001\002\003\004\006\b\f\000\377\376\375\374\372\370\364"
	.size	_ZL13kvalues_mxfp4, 16

	.type	__hip_cuid_87c426a7bcaf1f2d,@object ; @__hip_cuid_87c426a7bcaf1f2d
	.section	.bss,"aw",@nobits
	.globl	__hip_cuid_87c426a7bcaf1f2d
__hip_cuid_87c426a7bcaf1f2d:
	.byte	0                               ; 0x0
	.size	__hip_cuid_87c426a7bcaf1f2d, 1

	.ident	"AMD clang version 19.0.0git (https://github.com/RadeonOpenCompute/llvm-project roc-6.4.0 25133 c7fe45cf4b819c5991fe208aaa96edf142730f1d)"
	.section	".note.GNU-stack","",@progbits
	.addrsig
	.addrsig_sym __hip_cuid_87c426a7bcaf1f2d
	.amdgpu_metadata
---
amdhsa.kernels:
  - .agpr_count:     0
    .args:
      - .actual_access:  read_only
        .address_space:  global
        .offset:         0
        .size:           8
        .value_kind:     global_buffer
      - .actual_access:  write_only
        .address_space:  global
        .offset:         8
        .size:           8
        .value_kind:     global_buffer
      - .offset:         16
        .size:           8
        .value_kind:     by_value
    .group_segment_fixed_size: 2176
    .kernarg_segment_align: 8
    .kernarg_segment_size: 24
    .language:       OpenCL C
    .language_version:
      - 2
      - 0
    .max_flat_workgroup_size: 1024
    .name:           _ZL25dequantize_block_q8_0_f16ILb0EEvPKvP6__halfl
    .private_segment_fixed_size: 0
    .sgpr_count:     14
    .sgpr_spill_count: 0
    .symbol:         _ZL25dequantize_block_q8_0_f16ILb0EEvPKvP6__halfl.kd
    .uniform_work_group_size: 1
    .uses_dynamic_stack: false
    .vgpr_count:     32
    .vgpr_spill_count: 0
    .wavefront_size: 64
  - .agpr_count:     0
    .args:
      - .actual_access:  read_only
        .address_space:  global
        .offset:         0
        .size:           8
        .value_kind:     global_buffer
      - .actual_access:  write_only
        .address_space:  global
        .offset:         8
        .size:           8
        .value_kind:     global_buffer
      - .offset:         16
        .size:           8
        .value_kind:     by_value
    .group_segment_fixed_size: 2176
    .kernarg_segment_align: 8
    .kernarg_segment_size: 24
    .language:       OpenCL C
    .language_version:
      - 2
      - 0
    .max_flat_workgroup_size: 1024
    .name:           _ZL25dequantize_block_q8_0_f16ILb1EEvPKvP6__halfl
    .private_segment_fixed_size: 0
    .sgpr_count:     20
    .sgpr_spill_count: 0
    .symbol:         _ZL25dequantize_block_q8_0_f16ILb1EEvPKvP6__halfl.kd
    .uniform_work_group_size: 1
    .uses_dynamic_stack: false
    .vgpr_count:     7
    .vgpr_spill_count: 0
    .wavefront_size: 64
  - .agpr_count:     0
    .args:
      - .actual_access:  read_only
        .address_space:  global
        .offset:         0
        .size:           8
        .value_kind:     global_buffer
      - .actual_access:  write_only
        .address_space:  global
        .offset:         8
        .size:           8
        .value_kind:     global_buffer
      - .offset:         16
        .size:           4
        .value_kind:     by_value
    .group_segment_fixed_size: 0
    .kernarg_segment_align: 8
    .kernarg_segment_size: 20
    .language:       OpenCL C
    .language_version:
      - 2
      - 0
    .max_flat_workgroup_size: 1024
    .name:           _ZL21dequantize_block_q4_0I6__halfEvPKvPT_i
    .private_segment_fixed_size: 0
    .sgpr_count:     12
    .sgpr_spill_count: 0
    .symbol:         _ZL21dequantize_block_q4_0I6__halfEvPKvPT_i.kd
    .uniform_work_group_size: 1
    .uses_dynamic_stack: false
    .vgpr_count:     15
    .vgpr_spill_count: 0
    .wavefront_size: 64
  - .agpr_count:     0
    .args:
      - .actual_access:  read_only
        .address_space:  global
        .offset:         0
        .size:           8
        .value_kind:     global_buffer
      - .actual_access:  write_only
        .address_space:  global
        .offset:         8
        .size:           8
        .value_kind:     global_buffer
      - .offset:         16
        .size:           4
        .value_kind:     by_value
    .group_segment_fixed_size: 0
    .kernarg_segment_align: 8
    .kernarg_segment_size: 20
    .language:       OpenCL C
    .language_version:
      - 2
      - 0
    .max_flat_workgroup_size: 1024
    .name:           _ZL21dequantize_block_q4_1I6__halfEvPKvPT_i
    .private_segment_fixed_size: 0
    .sgpr_count:     12
    .sgpr_spill_count: 0
    .symbol:         _ZL21dequantize_block_q4_1I6__halfEvPKvPT_i.kd
    .uniform_work_group_size: 1
    .uses_dynamic_stack: false
    .vgpr_count:     13
    .vgpr_spill_count: 0
    .wavefront_size: 64
  - .agpr_count:     0
    .args:
      - .actual_access:  read_only
        .address_space:  global
        .offset:         0
        .size:           8
        .value_kind:     global_buffer
      - .actual_access:  write_only
        .address_space:  global
        .offset:         8
        .size:           8
        .value_kind:     global_buffer
    .group_segment_fixed_size: 0
    .kernarg_segment_align: 8
    .kernarg_segment_size: 16
    .language:       OpenCL C
    .language_version:
      - 2
      - 0
    .max_flat_workgroup_size: 1024
    .name:           _ZL21dequantize_block_q2_KI6__halfEvPKvPT_
    .private_segment_fixed_size: 0
    .sgpr_count:     12
    .sgpr_spill_count: 0
    .symbol:         _ZL21dequantize_block_q2_KI6__halfEvPKvPT_.kd
    .uniform_work_group_size: 1
    .uses_dynamic_stack: false
    .vgpr_count:     16
    .vgpr_spill_count: 0
    .wavefront_size: 64
  - .agpr_count:     0
    .args:
      - .actual_access:  read_only
        .address_space:  global
        .offset:         0
        .size:           8
        .value_kind:     global_buffer
      - .actual_access:  write_only
        .address_space:  global
        .offset:         8
        .size:           8
        .value_kind:     global_buffer
    .group_segment_fixed_size: 0
    .kernarg_segment_align: 8
    .kernarg_segment_size: 16
    .language:       OpenCL C
    .language_version:
      - 2
      - 0
    .max_flat_workgroup_size: 1024
    .name:           _ZL21dequantize_block_q3_KI6__halfEvPKvPT_
    .private_segment_fixed_size: 0
    .sgpr_count:     18
    .sgpr_spill_count: 0
    .symbol:         _ZL21dequantize_block_q3_KI6__halfEvPKvPT_.kd
    .uniform_work_group_size: 1
    .uses_dynamic_stack: false
    .vgpr_count:     17
    .vgpr_spill_count: 0
    .wavefront_size: 64
  - .agpr_count:     0
    .args:
      - .actual_access:  read_only
        .address_space:  global
        .offset:         0
        .size:           8
        .value_kind:     global_buffer
      - .actual_access:  write_only
        .address_space:  global
        .offset:         8
        .size:           8
        .value_kind:     global_buffer
    .group_segment_fixed_size: 0
    .kernarg_segment_align: 8
    .kernarg_segment_size: 16
    .language:       OpenCL C
    .language_version:
      - 2
      - 0
    .max_flat_workgroup_size: 1024
    .name:           _ZL21dequantize_block_q4_KI6__halfEvPKvPT_
    .private_segment_fixed_size: 0
    .sgpr_count:     15
    .sgpr_spill_count: 0
    .symbol:         _ZL21dequantize_block_q4_KI6__halfEvPKvPT_.kd
    .uniform_work_group_size: 1
    .uses_dynamic_stack: false
    .vgpr_count:     16
    .vgpr_spill_count: 0
    .wavefront_size: 64
  - .agpr_count:     0
    .args:
      - .actual_access:  read_only
        .address_space:  global
        .offset:         0
        .size:           8
        .value_kind:     global_buffer
      - .actual_access:  write_only
        .address_space:  global
        .offset:         8
        .size:           8
        .value_kind:     global_buffer
    .group_segment_fixed_size: 0
    .kernarg_segment_align: 8
    .kernarg_segment_size: 16
    .language:       OpenCL C
    .language_version:
      - 2
      - 0
    .max_flat_workgroup_size: 1024
    .name:           _ZL21dequantize_block_q5_KI6__halfEvPKvPT_
    .private_segment_fixed_size: 0
    .sgpr_count:     15
    .sgpr_spill_count: 0
    .symbol:         _ZL21dequantize_block_q5_KI6__halfEvPKvPT_.kd
    .uniform_work_group_size: 1
    .uses_dynamic_stack: false
    .vgpr_count:     15
    .vgpr_spill_count: 0
    .wavefront_size: 64
  - .agpr_count:     0
    .args:
      - .actual_access:  read_only
        .address_space:  global
        .offset:         0
        .size:           8
        .value_kind:     global_buffer
      - .actual_access:  write_only
        .address_space:  global
        .offset:         8
        .size:           8
        .value_kind:     global_buffer
    .group_segment_fixed_size: 0
    .kernarg_segment_align: 8
    .kernarg_segment_size: 16
    .language:       OpenCL C
    .language_version:
      - 2
      - 0
    .max_flat_workgroup_size: 1024
    .name:           _ZL21dequantize_block_q6_KI6__halfEvPKvPT_
    .private_segment_fixed_size: 0
    .sgpr_count:     12
    .sgpr_spill_count: 0
    .symbol:         _ZL21dequantize_block_q6_KI6__halfEvPKvPT_.kd
    .uniform_work_group_size: 1
    .uses_dynamic_stack: false
    .vgpr_count:     16
    .vgpr_spill_count: 0
    .wavefront_size: 64
  - .agpr_count:     0
    .args:
      - .actual_access:  read_only
        .address_space:  global
        .offset:         0
        .size:           8
        .value_kind:     global_buffer
      - .actual_access:  write_only
        .address_space:  global
        .offset:         8
        .size:           8
        .value_kind:     global_buffer
    .group_segment_fixed_size: 0
    .kernarg_segment_align: 8
    .kernarg_segment_size: 16
    .language:       OpenCL C
    .language_version:
      - 2
      - 0
    .max_flat_workgroup_size: 1024
    .name:           _ZL24dequantize_block_iq2_xxsI6__halfEvPKvPT_
    .private_segment_fixed_size: 0
    .sgpr_count:     12
    .sgpr_spill_count: 0
    .symbol:         _ZL24dequantize_block_iq2_xxsI6__halfEvPKvPT_.kd
    .uniform_work_group_size: 1
    .uses_dynamic_stack: false
    .vgpr_count:     19
    .vgpr_spill_count: 0
    .wavefront_size: 64
  - .agpr_count:     0
    .args:
      - .actual_access:  read_only
        .address_space:  global
        .offset:         0
        .size:           8
        .value_kind:     global_buffer
      - .actual_access:  write_only
        .address_space:  global
        .offset:         8
        .size:           8
        .value_kind:     global_buffer
    .group_segment_fixed_size: 0
    .kernarg_segment_align: 8
    .kernarg_segment_size: 16
    .language:       OpenCL C
    .language_version:
      - 2
      - 0
    .max_flat_workgroup_size: 1024
    .name:           _ZL23dequantize_block_iq2_xsI6__halfEvPKvPT_
    .private_segment_fixed_size: 0
    .sgpr_count:     13
    .sgpr_spill_count: 0
    .symbol:         _ZL23dequantize_block_iq2_xsI6__halfEvPKvPT_.kd
    .uniform_work_group_size: 1
    .uses_dynamic_stack: false
    .vgpr_count:     19
    .vgpr_spill_count: 0
    .wavefront_size: 64
  - .agpr_count:     0
    .args:
      - .actual_access:  read_only
        .address_space:  global
        .offset:         0
        .size:           8
        .value_kind:     global_buffer
      - .actual_access:  write_only
        .address_space:  global
        .offset:         8
        .size:           8
        .value_kind:     global_buffer
    .group_segment_fixed_size: 0
    .kernarg_segment_align: 8
    .kernarg_segment_size: 16
    .language:       OpenCL C
    .language_version:
      - 2
      - 0
    .max_flat_workgroup_size: 1024
    .name:           _ZL22dequantize_block_iq2_sI6__halfEvPKvPT_
    .private_segment_fixed_size: 0
    .sgpr_count:     12
    .sgpr_spill_count: 0
    .symbol:         _ZL22dequantize_block_iq2_sI6__halfEvPKvPT_.kd
    .uniform_work_group_size: 1
    .uses_dynamic_stack: false
    .vgpr_count:     19
    .vgpr_spill_count: 0
    .wavefront_size: 64
  - .agpr_count:     0
    .args:
      - .actual_access:  read_only
        .address_space:  global
        .offset:         0
        .size:           8
        .value_kind:     global_buffer
      - .actual_access:  write_only
        .address_space:  global
        .offset:         8
        .size:           8
        .value_kind:     global_buffer
    .group_segment_fixed_size: 0
    .kernarg_segment_align: 8
    .kernarg_segment_size: 16
    .language:       OpenCL C
    .language_version:
      - 2
      - 0
    .max_flat_workgroup_size: 1024
    .name:           _ZL24dequantize_block_iq3_xxsI6__halfEvPKvPT_
    .private_segment_fixed_size: 0
    .sgpr_count:     12
    .sgpr_spill_count: 0
    .symbol:         _ZL24dequantize_block_iq3_xxsI6__halfEvPKvPT_.kd
    .uniform_work_group_size: 1
    .uses_dynamic_stack: false
    .vgpr_count:     19
    .vgpr_spill_count: 0
    .wavefront_size: 64
  - .agpr_count:     0
    .args:
      - .actual_access:  read_only
        .address_space:  global
        .offset:         0
        .size:           8
        .value_kind:     global_buffer
      - .actual_access:  write_only
        .address_space:  global
        .offset:         8
        .size:           8
        .value_kind:     global_buffer
    .group_segment_fixed_size: 0
    .kernarg_segment_align: 8
    .kernarg_segment_size: 16
    .language:       OpenCL C
    .language_version:
      - 2
      - 0
    .max_flat_workgroup_size: 1024
    .name:           _ZL22dequantize_block_iq1_sI6__halfEvPKvPT_
    .private_segment_fixed_size: 0
    .sgpr_count:     12
    .sgpr_spill_count: 0
    .symbol:         _ZL22dequantize_block_iq1_sI6__halfEvPKvPT_.kd
    .uniform_work_group_size: 1
    .uses_dynamic_stack: false
    .vgpr_count:     14
    .vgpr_spill_count: 0
    .wavefront_size: 64
  - .agpr_count:     0
    .args:
      - .actual_access:  read_only
        .address_space:  global
        .offset:         0
        .size:           8
        .value_kind:     global_buffer
      - .actual_access:  write_only
        .address_space:  global
        .offset:         8
        .size:           8
        .value_kind:     global_buffer
    .group_segment_fixed_size: 0
    .kernarg_segment_align: 8
    .kernarg_segment_size: 16
    .language:       OpenCL C
    .language_version:
      - 2
      - 0
    .max_flat_workgroup_size: 1024
    .name:           _ZL22dequantize_block_iq1_mI6__halfEvPKvPT_
    .private_segment_fixed_size: 0
    .sgpr_count:     12
    .sgpr_spill_count: 0
    .symbol:         _ZL22dequantize_block_iq1_mI6__halfEvPKvPT_.kd
    .uniform_work_group_size: 1
    .uses_dynamic_stack: false
    .vgpr_count:     14
    .vgpr_spill_count: 0
    .wavefront_size: 64
  - .agpr_count:     0
    .args:
      - .actual_access:  read_only
        .address_space:  global
        .offset:         0
        .size:           8
        .value_kind:     global_buffer
      - .actual_access:  write_only
        .address_space:  global
        .offset:         8
        .size:           8
        .value_kind:     global_buffer
    .group_segment_fixed_size: 0
    .kernarg_segment_align: 8
    .kernarg_segment_size: 16
    .language:       OpenCL C
    .language_version:
      - 2
      - 0
    .max_flat_workgroup_size: 1024
    .name:           _ZL23dequantize_block_iq4_nlI6__halfEvPKvPT_
    .private_segment_fixed_size: 0
    .sgpr_count:     12
    .sgpr_spill_count: 0
    .symbol:         _ZL23dequantize_block_iq4_nlI6__halfEvPKvPT_.kd
    .uniform_work_group_size: 1
    .uses_dynamic_stack: false
    .vgpr_count:     18
    .vgpr_spill_count: 0
    .wavefront_size: 64
  - .agpr_count:     0
    .args:
      - .actual_access:  read_only
        .address_space:  global
        .offset:         0
        .size:           8
        .value_kind:     global_buffer
      - .actual_access:  write_only
        .address_space:  global
        .offset:         8
        .size:           8
        .value_kind:     global_buffer
    .group_segment_fixed_size: 0
    .kernarg_segment_align: 8
    .kernarg_segment_size: 16
    .language:       OpenCL C
    .language_version:
      - 2
      - 0
    .max_flat_workgroup_size: 1024
    .name:           _ZL23dequantize_block_iq4_xsI6__halfEvPKvPT_
    .private_segment_fixed_size: 0
    .sgpr_count:     12
    .sgpr_spill_count: 0
    .symbol:         _ZL23dequantize_block_iq4_xsI6__halfEvPKvPT_.kd
    .uniform_work_group_size: 1
    .uses_dynamic_stack: false
    .vgpr_count:     20
    .vgpr_spill_count: 0
    .wavefront_size: 64
  - .agpr_count:     0
    .args:
      - .actual_access:  read_only
        .address_space:  global
        .offset:         0
        .size:           8
        .value_kind:     global_buffer
      - .actual_access:  write_only
        .address_space:  global
        .offset:         8
        .size:           8
        .value_kind:     global_buffer
    .group_segment_fixed_size: 0
    .kernarg_segment_align: 8
    .kernarg_segment_size: 16
    .language:       OpenCL C
    .language_version:
      - 2
      - 0
    .max_flat_workgroup_size: 1024
    .name:           _ZL22dequantize_block_iq3_sI6__halfEvPKvPT_
    .private_segment_fixed_size: 0
    .sgpr_count:     12
    .sgpr_spill_count: 0
    .symbol:         _ZL22dequantize_block_iq3_sI6__halfEvPKvPT_.kd
    .uniform_work_group_size: 1
    .uses_dynamic_stack: false
    .vgpr_count:     19
    .vgpr_spill_count: 0
    .wavefront_size: 64
  - .agpr_count:     0
    .args:
      - .actual_access:  read_only
        .address_space:  global
        .offset:         0
        .size:           8
        .value_kind:     global_buffer
      - .actual_access:  write_only
        .address_space:  global
        .offset:         8
        .size:           8
        .value_kind:     global_buffer
    .group_segment_fixed_size: 0
    .kernarg_segment_align: 8
    .kernarg_segment_size: 16
    .language:       OpenCL C
    .language_version:
      - 2
      - 0
    .max_flat_workgroup_size: 1024
    .name:           _ZL22dequantize_block_mxfp4I6__halfEvPKvPT_
    .private_segment_fixed_size: 0
    .sgpr_count:     12
    .sgpr_spill_count: 0
    .symbol:         _ZL22dequantize_block_mxfp4I6__halfEvPKvPT_.kd
    .uniform_work_group_size: 1
    .uses_dynamic_stack: false
    .vgpr_count:     18
    .vgpr_spill_count: 0
    .wavefront_size: 64
  - .agpr_count:     0
    .args:
      - .actual_access:  read_only
        .address_space:  global
        .offset:         0
        .size:           8
        .value_kind:     global_buffer
      - .actual_access:  write_only
        .address_space:  global
        .offset:         8
        .size:           8
        .value_kind:     global_buffer
      - .offset:         16
        .size:           8
        .value_kind:     by_value
    .group_segment_fixed_size: 0
    .kernarg_segment_align: 8
    .kernarg_segment_size: 24
    .language:       OpenCL C
    .language_version:
      - 2
      - 0
    .max_flat_workgroup_size: 1024
    .name:           _ZL22dequantize_block_nvfp4I6__halfEvPKvPT_l
    .private_segment_fixed_size: 0
    .sgpr_count:     17
    .sgpr_spill_count: 0
    .symbol:         _ZL22dequantize_block_nvfp4I6__halfEvPKvPT_l.kd
    .uniform_work_group_size: 1
    .uses_dynamic_stack: false
    .vgpr_count:     8
    .vgpr_spill_count: 0
    .wavefront_size: 64
  - .agpr_count:     0
    .args:
      - .actual_access:  read_only
        .address_space:  global
        .offset:         0
        .size:           8
        .value_kind:     global_buffer
      - .actual_access:  write_only
        .address_space:  global
        .offset:         8
        .size:           8
        .value_kind:     global_buffer
      - .offset:         16
        .size:           4
        .value_kind:     by_value
    .group_segment_fixed_size: 0
    .kernarg_segment_align: 8
    .kernarg_segment_size: 20
    .language:       OpenCL C
    .language_version:
      - 2
      - 0
    .max_flat_workgroup_size: 1024
    .name:           _ZL21dequantize_block_q4_0IfEvPKvPT_i
    .private_segment_fixed_size: 0
    .sgpr_count:     12
    .sgpr_spill_count: 0
    .symbol:         _ZL21dequantize_block_q4_0IfEvPKvPT_i.kd
    .uniform_work_group_size: 1
    .uses_dynamic_stack: false
    .vgpr_count:     14
    .vgpr_spill_count: 0
    .wavefront_size: 64
  - .agpr_count:     0
    .args:
      - .actual_access:  read_only
        .address_space:  global
        .offset:         0
        .size:           8
        .value_kind:     global_buffer
      - .actual_access:  write_only
        .address_space:  global
        .offset:         8
        .size:           8
        .value_kind:     global_buffer
      - .offset:         16
        .size:           4
        .value_kind:     by_value
    .group_segment_fixed_size: 0
    .kernarg_segment_align: 8
    .kernarg_segment_size: 20
    .language:       OpenCL C
    .language_version:
      - 2
      - 0
    .max_flat_workgroup_size: 1024
    .name:           _ZL21dequantize_block_q4_1IfEvPKvPT_i
    .private_segment_fixed_size: 0
    .sgpr_count:     12
    .sgpr_spill_count: 0
    .symbol:         _ZL21dequantize_block_q4_1IfEvPKvPT_i.kd
    .uniform_work_group_size: 1
    .uses_dynamic_stack: false
    .vgpr_count:     15
    .vgpr_spill_count: 0
    .wavefront_size: 64
  - .agpr_count:     0
    .args:
      - .actual_access:  read_only
        .address_space:  global
        .offset:         0
        .size:           8
        .value_kind:     global_buffer
      - .actual_access:  write_only
        .address_space:  global
        .offset:         8
        .size:           8
        .value_kind:     global_buffer
    .group_segment_fixed_size: 0
    .kernarg_segment_align: 8
    .kernarg_segment_size: 16
    .language:       OpenCL C
    .language_version:
      - 2
      - 0
    .max_flat_workgroup_size: 1024
    .name:           _ZL21dequantize_block_q2_KIfEvPKvPT_
    .private_segment_fixed_size: 0
    .sgpr_count:     12
    .sgpr_spill_count: 0
    .symbol:         _ZL21dequantize_block_q2_KIfEvPKvPT_.kd
    .uniform_work_group_size: 1
    .uses_dynamic_stack: false
    .vgpr_count:     16
    .vgpr_spill_count: 0
    .wavefront_size: 64
  - .agpr_count:     0
    .args:
      - .actual_access:  read_only
        .address_space:  global
        .offset:         0
        .size:           8
        .value_kind:     global_buffer
      - .actual_access:  write_only
        .address_space:  global
        .offset:         8
        .size:           8
        .value_kind:     global_buffer
    .group_segment_fixed_size: 0
    .kernarg_segment_align: 8
    .kernarg_segment_size: 16
    .language:       OpenCL C
    .language_version:
      - 2
      - 0
    .max_flat_workgroup_size: 1024
    .name:           _ZL21dequantize_block_q3_KIfEvPKvPT_
    .private_segment_fixed_size: 0
    .sgpr_count:     18
    .sgpr_spill_count: 0
    .symbol:         _ZL21dequantize_block_q3_KIfEvPKvPT_.kd
    .uniform_work_group_size: 1
    .uses_dynamic_stack: false
    .vgpr_count:     17
    .vgpr_spill_count: 0
    .wavefront_size: 64
  - .agpr_count:     0
    .args:
      - .actual_access:  read_only
        .address_space:  global
        .offset:         0
        .size:           8
        .value_kind:     global_buffer
      - .actual_access:  write_only
        .address_space:  global
        .offset:         8
        .size:           8
        .value_kind:     global_buffer
    .group_segment_fixed_size: 0
    .kernarg_segment_align: 8
    .kernarg_segment_size: 16
    .language:       OpenCL C
    .language_version:
      - 2
      - 0
    .max_flat_workgroup_size: 1024
    .name:           _ZL21dequantize_block_q4_KIfEvPKvPT_
    .private_segment_fixed_size: 0
    .sgpr_count:     15
    .sgpr_spill_count: 0
    .symbol:         _ZL21dequantize_block_q4_KIfEvPKvPT_.kd
    .uniform_work_group_size: 1
    .uses_dynamic_stack: false
    .vgpr_count:     16
    .vgpr_spill_count: 0
    .wavefront_size: 64
  - .agpr_count:     0
    .args:
      - .actual_access:  read_only
        .address_space:  global
        .offset:         0
        .size:           8
        .value_kind:     global_buffer
      - .actual_access:  write_only
        .address_space:  global
        .offset:         8
        .size:           8
        .value_kind:     global_buffer
    .group_segment_fixed_size: 0
    .kernarg_segment_align: 8
    .kernarg_segment_size: 16
    .language:       OpenCL C
    .language_version:
      - 2
      - 0
    .max_flat_workgroup_size: 1024
    .name:           _ZL21dequantize_block_q5_KIfEvPKvPT_
    .private_segment_fixed_size: 0
    .sgpr_count:     15
    .sgpr_spill_count: 0
    .symbol:         _ZL21dequantize_block_q5_KIfEvPKvPT_.kd
    .uniform_work_group_size: 1
    .uses_dynamic_stack: false
    .vgpr_count:     15
    .vgpr_spill_count: 0
    .wavefront_size: 64
  - .agpr_count:     0
    .args:
      - .actual_access:  read_only
        .address_space:  global
        .offset:         0
        .size:           8
        .value_kind:     global_buffer
      - .actual_access:  write_only
        .address_space:  global
        .offset:         8
        .size:           8
        .value_kind:     global_buffer
    .group_segment_fixed_size: 0
    .kernarg_segment_align: 8
    .kernarg_segment_size: 16
    .language:       OpenCL C
    .language_version:
      - 2
      - 0
    .max_flat_workgroup_size: 1024
    .name:           _ZL21dequantize_block_q6_KIfEvPKvPT_
    .private_segment_fixed_size: 0
    .sgpr_count:     12
    .sgpr_spill_count: 0
    .symbol:         _ZL21dequantize_block_q6_KIfEvPKvPT_.kd
    .uniform_work_group_size: 1
    .uses_dynamic_stack: false
    .vgpr_count:     16
    .vgpr_spill_count: 0
    .wavefront_size: 64
  - .agpr_count:     0
    .args:
      - .actual_access:  read_only
        .address_space:  global
        .offset:         0
        .size:           8
        .value_kind:     global_buffer
      - .actual_access:  write_only
        .address_space:  global
        .offset:         8
        .size:           8
        .value_kind:     global_buffer
    .group_segment_fixed_size: 0
    .kernarg_segment_align: 8
    .kernarg_segment_size: 16
    .language:       OpenCL C
    .language_version:
      - 2
      - 0
    .max_flat_workgroup_size: 1024
    .name:           _ZL24dequantize_block_iq2_xxsIfEvPKvPT_
    .private_segment_fixed_size: 0
    .sgpr_count:     12
    .sgpr_spill_count: 0
    .symbol:         _ZL24dequantize_block_iq2_xxsIfEvPKvPT_.kd
    .uniform_work_group_size: 1
    .uses_dynamic_stack: false
    .vgpr_count:     21
    .vgpr_spill_count: 0
    .wavefront_size: 64
  - .agpr_count:     0
    .args:
      - .actual_access:  read_only
        .address_space:  global
        .offset:         0
        .size:           8
        .value_kind:     global_buffer
      - .actual_access:  write_only
        .address_space:  global
        .offset:         8
        .size:           8
        .value_kind:     global_buffer
    .group_segment_fixed_size: 0
    .kernarg_segment_align: 8
    .kernarg_segment_size: 16
    .language:       OpenCL C
    .language_version:
      - 2
      - 0
    .max_flat_workgroup_size: 1024
    .name:           _ZL23dequantize_block_iq2_xsIfEvPKvPT_
    .private_segment_fixed_size: 0
    .sgpr_count:     13
    .sgpr_spill_count: 0
    .symbol:         _ZL23dequantize_block_iq2_xsIfEvPKvPT_.kd
    .uniform_work_group_size: 1
    .uses_dynamic_stack: false
    .vgpr_count:     20
    .vgpr_spill_count: 0
    .wavefront_size: 64
  - .agpr_count:     0
    .args:
      - .actual_access:  read_only
        .address_space:  global
        .offset:         0
        .size:           8
        .value_kind:     global_buffer
      - .actual_access:  write_only
        .address_space:  global
        .offset:         8
        .size:           8
        .value_kind:     global_buffer
    .group_segment_fixed_size: 0
    .kernarg_segment_align: 8
    .kernarg_segment_size: 16
    .language:       OpenCL C
    .language_version:
      - 2
      - 0
    .max_flat_workgroup_size: 1024
    .name:           _ZL22dequantize_block_iq2_sIfEvPKvPT_
    .private_segment_fixed_size: 0
    .sgpr_count:     12
    .sgpr_spill_count: 0
    .symbol:         _ZL22dequantize_block_iq2_sIfEvPKvPT_.kd
    .uniform_work_group_size: 1
    .uses_dynamic_stack: false
    .vgpr_count:     21
    .vgpr_spill_count: 0
    .wavefront_size: 64
  - .agpr_count:     0
    .args:
      - .actual_access:  read_only
        .address_space:  global
        .offset:         0
        .size:           8
        .value_kind:     global_buffer
      - .actual_access:  write_only
        .address_space:  global
        .offset:         8
        .size:           8
        .value_kind:     global_buffer
    .group_segment_fixed_size: 0
    .kernarg_segment_align: 8
    .kernarg_segment_size: 16
    .language:       OpenCL C
    .language_version:
      - 2
      - 0
    .max_flat_workgroup_size: 1024
    .name:           _ZL24dequantize_block_iq3_xxsIfEvPKvPT_
    .private_segment_fixed_size: 0
    .sgpr_count:     12
    .sgpr_spill_count: 0
    .symbol:         _ZL24dequantize_block_iq3_xxsIfEvPKvPT_.kd
    .uniform_work_group_size: 1
    .uses_dynamic_stack: false
    .vgpr_count:     20
    .vgpr_spill_count: 0
    .wavefront_size: 64
  - .agpr_count:     0
    .args:
      - .actual_access:  read_only
        .address_space:  global
        .offset:         0
        .size:           8
        .value_kind:     global_buffer
      - .actual_access:  write_only
        .address_space:  global
        .offset:         8
        .size:           8
        .value_kind:     global_buffer
    .group_segment_fixed_size: 0
    .kernarg_segment_align: 8
    .kernarg_segment_size: 16
    .language:       OpenCL C
    .language_version:
      - 2
      - 0
    .max_flat_workgroup_size: 1024
    .name:           _ZL22dequantize_block_iq1_sIfEvPKvPT_
    .private_segment_fixed_size: 0
    .sgpr_count:     12
    .sgpr_spill_count: 0
    .symbol:         _ZL22dequantize_block_iq1_sIfEvPKvPT_.kd
    .uniform_work_group_size: 1
    .uses_dynamic_stack: false
    .vgpr_count:     14
    .vgpr_spill_count: 0
    .wavefront_size: 64
  - .agpr_count:     0
    .args:
      - .actual_access:  read_only
        .address_space:  global
        .offset:         0
        .size:           8
        .value_kind:     global_buffer
      - .actual_access:  write_only
        .address_space:  global
        .offset:         8
        .size:           8
        .value_kind:     global_buffer
    .group_segment_fixed_size: 0
    .kernarg_segment_align: 8
    .kernarg_segment_size: 16
    .language:       OpenCL C
    .language_version:
      - 2
      - 0
    .max_flat_workgroup_size: 1024
    .name:           _ZL22dequantize_block_iq1_mIfEvPKvPT_
    .private_segment_fixed_size: 0
    .sgpr_count:     12
    .sgpr_spill_count: 0
    .symbol:         _ZL22dequantize_block_iq1_mIfEvPKvPT_.kd
    .uniform_work_group_size: 1
    .uses_dynamic_stack: false
    .vgpr_count:     14
    .vgpr_spill_count: 0
    .wavefront_size: 64
  - .agpr_count:     0
    .args:
      - .actual_access:  read_only
        .address_space:  global
        .offset:         0
        .size:           8
        .value_kind:     global_buffer
      - .actual_access:  write_only
        .address_space:  global
        .offset:         8
        .size:           8
        .value_kind:     global_buffer
    .group_segment_fixed_size: 0
    .kernarg_segment_align: 8
    .kernarg_segment_size: 16
    .language:       OpenCL C
    .language_version:
      - 2
      - 0
    .max_flat_workgroup_size: 1024
    .name:           _ZL23dequantize_block_iq4_nlIfEvPKvPT_
    .private_segment_fixed_size: 0
    .sgpr_count:     12
    .sgpr_spill_count: 0
    .symbol:         _ZL23dequantize_block_iq4_nlIfEvPKvPT_.kd
    .uniform_work_group_size: 1
    .uses_dynamic_stack: false
    .vgpr_count:     20
    .vgpr_spill_count: 0
    .wavefront_size: 64
  - .agpr_count:     0
    .args:
      - .actual_access:  read_only
        .address_space:  global
        .offset:         0
        .size:           8
        .value_kind:     global_buffer
      - .actual_access:  write_only
        .address_space:  global
        .offset:         8
        .size:           8
        .value_kind:     global_buffer
    .group_segment_fixed_size: 0
    .kernarg_segment_align: 8
    .kernarg_segment_size: 16
    .language:       OpenCL C
    .language_version:
      - 2
      - 0
    .max_flat_workgroup_size: 1024
    .name:           _ZL23dequantize_block_iq4_xsIfEvPKvPT_
    .private_segment_fixed_size: 0
    .sgpr_count:     12
    .sgpr_spill_count: 0
    .symbol:         _ZL23dequantize_block_iq4_xsIfEvPKvPT_.kd
    .uniform_work_group_size: 1
    .uses_dynamic_stack: false
    .vgpr_count:     22
    .vgpr_spill_count: 0
    .wavefront_size: 64
  - .agpr_count:     0
    .args:
      - .actual_access:  read_only
        .address_space:  global
        .offset:         0
        .size:           8
        .value_kind:     global_buffer
      - .actual_access:  write_only
        .address_space:  global
        .offset:         8
        .size:           8
        .value_kind:     global_buffer
    .group_segment_fixed_size: 0
    .kernarg_segment_align: 8
    .kernarg_segment_size: 16
    .language:       OpenCL C
    .language_version:
      - 2
      - 0
    .max_flat_workgroup_size: 1024
    .name:           _ZL22dequantize_block_iq3_sIfEvPKvPT_
    .private_segment_fixed_size: 0
    .sgpr_count:     12
    .sgpr_spill_count: 0
    .symbol:         _ZL22dequantize_block_iq3_sIfEvPKvPT_.kd
    .uniform_work_group_size: 1
    .uses_dynamic_stack: false
    .vgpr_count:     21
    .vgpr_spill_count: 0
    .wavefront_size: 64
  - .agpr_count:     0
    .args:
      - .actual_access:  read_only
        .address_space:  global
        .offset:         0
        .size:           8
        .value_kind:     global_buffer
      - .actual_access:  write_only
        .address_space:  global
        .offset:         8
        .size:           8
        .value_kind:     global_buffer
    .group_segment_fixed_size: 0
    .kernarg_segment_align: 8
    .kernarg_segment_size: 16
    .language:       OpenCL C
    .language_version:
      - 2
      - 0
    .max_flat_workgroup_size: 1024
    .name:           _ZL22dequantize_block_mxfp4IfEvPKvPT_
    .private_segment_fixed_size: 0
    .sgpr_count:     12
    .sgpr_spill_count: 0
    .symbol:         _ZL22dequantize_block_mxfp4IfEvPKvPT_.kd
    .uniform_work_group_size: 1
    .uses_dynamic_stack: false
    .vgpr_count:     21
    .vgpr_spill_count: 0
    .wavefront_size: 64
  - .agpr_count:     0
    .args:
      - .actual_access:  read_only
        .address_space:  global
        .offset:         0
        .size:           8
        .value_kind:     global_buffer
      - .actual_access:  write_only
        .address_space:  global
        .offset:         8
        .size:           8
        .value_kind:     global_buffer
      - .offset:         16
        .size:           8
        .value_kind:     by_value
    .group_segment_fixed_size: 0
    .kernarg_segment_align: 8
    .kernarg_segment_size: 24
    .language:       OpenCL C
    .language_version:
      - 2
      - 0
    .max_flat_workgroup_size: 1024
    .name:           _ZL22dequantize_block_nvfp4IfEvPKvPT_l
    .private_segment_fixed_size: 0
    .sgpr_count:     17
    .sgpr_spill_count: 0
    .symbol:         _ZL22dequantize_block_nvfp4IfEvPKvPT_l.kd
    .uniform_work_group_size: 1
    .uses_dynamic_stack: false
    .vgpr_count:     8
    .vgpr_spill_count: 0
    .wavefront_size: 64
  - .agpr_count:     0
    .args:
      - .actual_access:  read_only
        .address_space:  global
        .offset:         0
        .size:           8
        .value_kind:     global_buffer
      - .actual_access:  write_only
        .address_space:  global
        .offset:         8
        .size:           8
        .value_kind:     global_buffer
      - .offset:         16
        .size:           8
        .value_kind:     by_value
      - .offset:         24
        .size:           8
        .value_kind:     by_value
      - .offset:         32
        .size:           8
        .value_kind:     by_value
      - .offset:         40
        .size:           12
        .value_kind:     by_value
      - .offset:         56
        .size:           8
        .value_kind:     by_value
      - .offset:         64
        .size:           8
        .value_kind:     by_value
      - .offset:         72
        .size:           8
        .value_kind:     by_value
      - .offset:         80
        .size:           4
        .value_kind:     hidden_block_count_x
      - .offset:         84
        .size:           4
        .value_kind:     hidden_block_count_y
      - .offset:         88
        .size:           4
        .value_kind:     hidden_block_count_z
      - .offset:         92
        .size:           2
        .value_kind:     hidden_group_size_x
      - .offset:         94
        .size:           2
        .value_kind:     hidden_group_size_y
      - .offset:         96
        .size:           2
        .value_kind:     hidden_group_size_z
      - .offset:         98
        .size:           2
        .value_kind:     hidden_remainder_x
      - .offset:         100
        .size:           2
        .value_kind:     hidden_remainder_y
      - .offset:         102
        .size:           2
        .value_kind:     hidden_remainder_z
      - .offset:         120
        .size:           8
        .value_kind:     hidden_global_offset_x
      - .offset:         128
        .size:           8
        .value_kind:     hidden_global_offset_y
      - .offset:         136
        .size:           8
        .value_kind:     hidden_global_offset_z
      - .offset:         144
        .size:           2
        .value_kind:     hidden_grid_dims
    .group_segment_fixed_size: 0
    .kernarg_segment_align: 8
    .kernarg_segment_size: 336
    .language:       OpenCL C
    .language_version:
      - 2
      - 0
    .max_flat_workgroup_size: 1024
    .name:           _ZL13convert_unaryIf6__halfEvPKvPT0_lll15HIP_vector_typeIjLj3EElll
    .private_segment_fixed_size: 0
    .sgpr_count:     91
    .sgpr_spill_count: 0
    .symbol:         _ZL13convert_unaryIf6__halfEvPKvPT0_lll15HIP_vector_typeIjLj3EElll.kd
    .uniform_work_group_size: 1
    .uses_dynamic_stack: false
    .vgpr_count:     16
    .vgpr_spill_count: 0
    .wavefront_size: 64
  - .agpr_count:     0
    .args:
      - .actual_access:  read_only
        .address_space:  global
        .offset:         0
        .size:           8
        .value_kind:     global_buffer
      - .actual_access:  write_only
        .address_space:  global
        .offset:         8
        .size:           8
        .value_kind:     global_buffer
      - .offset:         16
        .size:           8
        .value_kind:     by_value
      - .offset:         24
        .size:           8
        .value_kind:     by_value
      - .offset:         32
        .size:           8
        .value_kind:     by_value
      - .offset:         40
        .size:           12
        .value_kind:     by_value
      - .offset:         56
        .size:           8
        .value_kind:     by_value
      - .offset:         64
        .size:           8
        .value_kind:     by_value
      - .offset:         72
        .size:           8
        .value_kind:     by_value
      - .offset:         80
        .size:           4
        .value_kind:     hidden_block_count_x
      - .offset:         84
        .size:           4
        .value_kind:     hidden_block_count_y
      - .offset:         88
        .size:           4
        .value_kind:     hidden_block_count_z
      - .offset:         92
        .size:           2
        .value_kind:     hidden_group_size_x
      - .offset:         94
        .size:           2
        .value_kind:     hidden_group_size_y
      - .offset:         96
        .size:           2
        .value_kind:     hidden_group_size_z
      - .offset:         98
        .size:           2
        .value_kind:     hidden_remainder_x
      - .offset:         100
        .size:           2
        .value_kind:     hidden_remainder_y
      - .offset:         102
        .size:           2
        .value_kind:     hidden_remainder_z
      - .offset:         120
        .size:           8
        .value_kind:     hidden_global_offset_x
      - .offset:         128
        .size:           8
        .value_kind:     hidden_global_offset_y
      - .offset:         136
        .size:           8
        .value_kind:     hidden_global_offset_z
      - .offset:         144
        .size:           2
        .value_kind:     hidden_grid_dims
    .group_segment_fixed_size: 0
    .kernarg_segment_align: 8
    .kernarg_segment_size: 336
    .language:       OpenCL C
    .language_version:
      - 2
      - 0
    .max_flat_workgroup_size: 1024
    .name:           _ZL16dequantize_blockILi128ELi1EXadL_ZL15dequantize_q1_0PKvliR15HIP_vector_typeIfLj2EEEE6__halfEvS1_PT2_lllS2_IjLj3EElll
    .private_segment_fixed_size: 0
    .sgpr_count:     43
    .sgpr_spill_count: 0
    .symbol:         _ZL16dequantize_blockILi128ELi1EXadL_ZL15dequantize_q1_0PKvliR15HIP_vector_typeIfLj2EEEE6__halfEvS1_PT2_lllS2_IjLj3EElll.kd
    .uniform_work_group_size: 1
    .uses_dynamic_stack: false
    .vgpr_count:     21
    .vgpr_spill_count: 0
    .wavefront_size: 64
  - .agpr_count:     0
    .args:
      - .actual_access:  read_only
        .address_space:  global
        .offset:         0
        .size:           8
        .value_kind:     global_buffer
      - .actual_access:  write_only
        .address_space:  global
        .offset:         8
        .size:           8
        .value_kind:     global_buffer
      - .offset:         16
        .size:           8
        .value_kind:     by_value
      - .offset:         24
        .size:           8
        .value_kind:     by_value
      - .offset:         32
        .size:           8
        .value_kind:     by_value
      - .offset:         40
        .size:           12
        .value_kind:     by_value
      - .offset:         56
        .size:           8
        .value_kind:     by_value
      - .offset:         64
        .size:           8
        .value_kind:     by_value
      - .offset:         72
        .size:           8
        .value_kind:     by_value
      - .offset:         80
        .size:           4
        .value_kind:     hidden_block_count_x
      - .offset:         84
        .size:           4
        .value_kind:     hidden_block_count_y
      - .offset:         88
        .size:           4
        .value_kind:     hidden_block_count_z
      - .offset:         92
        .size:           2
        .value_kind:     hidden_group_size_x
      - .offset:         94
        .size:           2
        .value_kind:     hidden_group_size_y
      - .offset:         96
        .size:           2
        .value_kind:     hidden_group_size_z
      - .offset:         98
        .size:           2
        .value_kind:     hidden_remainder_x
      - .offset:         100
        .size:           2
        .value_kind:     hidden_remainder_y
      - .offset:         102
        .size:           2
        .value_kind:     hidden_remainder_z
      - .offset:         120
        .size:           8
        .value_kind:     hidden_global_offset_x
      - .offset:         128
        .size:           8
        .value_kind:     hidden_global_offset_y
      - .offset:         136
        .size:           8
        .value_kind:     hidden_global_offset_z
      - .offset:         144
        .size:           2
        .value_kind:     hidden_grid_dims
    .group_segment_fixed_size: 0
    .kernarg_segment_align: 8
    .kernarg_segment_size: 336
    .language:       OpenCL C
    .language_version:
      - 2
      - 0
    .max_flat_workgroup_size: 1024
    .name:           _ZL16dequantize_blockILi32ELi2EXadL_ZL15dequantize_q4_0PKvliR15HIP_vector_typeIfLj2EEEE6__halfEvS1_PT2_lllS2_IjLj3EElll
    .private_segment_fixed_size: 0
    .sgpr_count:     43
    .sgpr_spill_count: 0
    .symbol:         _ZL16dequantize_blockILi32ELi2EXadL_ZL15dequantize_q4_0PKvliR15HIP_vector_typeIfLj2EEEE6__halfEvS1_PT2_lllS2_IjLj3EElll.kd
    .uniform_work_group_size: 1
    .uses_dynamic_stack: false
    .vgpr_count:     19
    .vgpr_spill_count: 0
    .wavefront_size: 64
  - .agpr_count:     0
    .args:
      - .actual_access:  read_only
        .address_space:  global
        .offset:         0
        .size:           8
        .value_kind:     global_buffer
      - .actual_access:  write_only
        .address_space:  global
        .offset:         8
        .size:           8
        .value_kind:     global_buffer
      - .offset:         16
        .size:           8
        .value_kind:     by_value
      - .offset:         24
        .size:           8
        .value_kind:     by_value
      - .offset:         32
        .size:           8
        .value_kind:     by_value
      - .offset:         40
        .size:           12
        .value_kind:     by_value
      - .offset:         56
        .size:           8
        .value_kind:     by_value
      - .offset:         64
        .size:           8
        .value_kind:     by_value
      - .offset:         72
        .size:           8
        .value_kind:     by_value
      - .offset:         80
        .size:           4
        .value_kind:     hidden_block_count_x
      - .offset:         84
        .size:           4
        .value_kind:     hidden_block_count_y
      - .offset:         88
        .size:           4
        .value_kind:     hidden_block_count_z
      - .offset:         92
        .size:           2
        .value_kind:     hidden_group_size_x
      - .offset:         94
        .size:           2
        .value_kind:     hidden_group_size_y
      - .offset:         96
        .size:           2
        .value_kind:     hidden_group_size_z
      - .offset:         98
        .size:           2
        .value_kind:     hidden_remainder_x
      - .offset:         100
        .size:           2
        .value_kind:     hidden_remainder_y
      - .offset:         102
        .size:           2
        .value_kind:     hidden_remainder_z
      - .offset:         120
        .size:           8
        .value_kind:     hidden_global_offset_x
      - .offset:         128
        .size:           8
        .value_kind:     hidden_global_offset_y
      - .offset:         136
        .size:           8
        .value_kind:     hidden_global_offset_z
      - .offset:         144
        .size:           2
        .value_kind:     hidden_grid_dims
    .group_segment_fixed_size: 0
    .kernarg_segment_align: 8
    .kernarg_segment_size: 336
    .language:       OpenCL C
    .language_version:
      - 2
      - 0
    .max_flat_workgroup_size: 1024
    .name:           _ZL16dequantize_blockILi32ELi2EXadL_ZL15dequantize_q4_1PKvliR15HIP_vector_typeIfLj2EEEE6__halfEvS1_PT2_lllS2_IjLj3EElll
    .private_segment_fixed_size: 0
    .sgpr_count:     43
    .sgpr_spill_count: 0
    .symbol:         _ZL16dequantize_blockILi32ELi2EXadL_ZL15dequantize_q4_1PKvliR15HIP_vector_typeIfLj2EEEE6__halfEvS1_PT2_lllS2_IjLj3EElll.kd
    .uniform_work_group_size: 1
    .uses_dynamic_stack: false
    .vgpr_count:     19
    .vgpr_spill_count: 0
    .wavefront_size: 64
  - .agpr_count:     0
    .args:
      - .actual_access:  read_only
        .address_space:  global
        .offset:         0
        .size:           8
        .value_kind:     global_buffer
      - .actual_access:  write_only
        .address_space:  global
        .offset:         8
        .size:           8
        .value_kind:     global_buffer
      - .offset:         16
        .size:           8
        .value_kind:     by_value
      - .offset:         24
        .size:           8
        .value_kind:     by_value
      - .offset:         32
        .size:           8
        .value_kind:     by_value
      - .offset:         40
        .size:           12
        .value_kind:     by_value
      - .offset:         56
        .size:           8
        .value_kind:     by_value
      - .offset:         64
        .size:           8
        .value_kind:     by_value
      - .offset:         72
        .size:           8
        .value_kind:     by_value
      - .offset:         80
        .size:           4
        .value_kind:     hidden_block_count_x
      - .offset:         84
        .size:           4
        .value_kind:     hidden_block_count_y
      - .offset:         88
        .size:           4
        .value_kind:     hidden_block_count_z
      - .offset:         92
        .size:           2
        .value_kind:     hidden_group_size_x
      - .offset:         94
        .size:           2
        .value_kind:     hidden_group_size_y
      - .offset:         96
        .size:           2
        .value_kind:     hidden_group_size_z
      - .offset:         98
        .size:           2
        .value_kind:     hidden_remainder_x
      - .offset:         100
        .size:           2
        .value_kind:     hidden_remainder_y
      - .offset:         102
        .size:           2
        .value_kind:     hidden_remainder_z
      - .offset:         120
        .size:           8
        .value_kind:     hidden_global_offset_x
      - .offset:         128
        .size:           8
        .value_kind:     hidden_global_offset_y
      - .offset:         136
        .size:           8
        .value_kind:     hidden_global_offset_z
      - .offset:         144
        .size:           2
        .value_kind:     hidden_grid_dims
    .group_segment_fixed_size: 0
    .kernarg_segment_align: 8
    .kernarg_segment_size: 336
    .language:       OpenCL C
    .language_version:
      - 2
      - 0
    .max_flat_workgroup_size: 1024
    .name:           _ZL16dequantize_blockILi32ELi2EXadL_ZL15dequantize_q5_0PKvliR15HIP_vector_typeIfLj2EEEE6__halfEvS1_PT2_lllS2_IjLj3EElll
    .private_segment_fixed_size: 0
    .sgpr_count:     44
    .sgpr_spill_count: 0
    .symbol:         _ZL16dequantize_blockILi32ELi2EXadL_ZL15dequantize_q5_0PKvliR15HIP_vector_typeIfLj2EEEE6__halfEvS1_PT2_lllS2_IjLj3EElll.kd
    .uniform_work_group_size: 1
    .uses_dynamic_stack: false
    .vgpr_count:     20
    .vgpr_spill_count: 0
    .wavefront_size: 64
  - .agpr_count:     0
    .args:
      - .actual_access:  read_only
        .address_space:  global
        .offset:         0
        .size:           8
        .value_kind:     global_buffer
      - .actual_access:  write_only
        .address_space:  global
        .offset:         8
        .size:           8
        .value_kind:     global_buffer
      - .offset:         16
        .size:           8
        .value_kind:     by_value
      - .offset:         24
        .size:           8
        .value_kind:     by_value
      - .offset:         32
        .size:           8
        .value_kind:     by_value
      - .offset:         40
        .size:           12
        .value_kind:     by_value
      - .offset:         56
        .size:           8
        .value_kind:     by_value
      - .offset:         64
        .size:           8
        .value_kind:     by_value
      - .offset:         72
        .size:           8
        .value_kind:     by_value
      - .offset:         80
        .size:           4
        .value_kind:     hidden_block_count_x
      - .offset:         84
        .size:           4
        .value_kind:     hidden_block_count_y
      - .offset:         88
        .size:           4
        .value_kind:     hidden_block_count_z
      - .offset:         92
        .size:           2
        .value_kind:     hidden_group_size_x
      - .offset:         94
        .size:           2
        .value_kind:     hidden_group_size_y
      - .offset:         96
        .size:           2
        .value_kind:     hidden_group_size_z
      - .offset:         98
        .size:           2
        .value_kind:     hidden_remainder_x
      - .offset:         100
        .size:           2
        .value_kind:     hidden_remainder_y
      - .offset:         102
        .size:           2
        .value_kind:     hidden_remainder_z
      - .offset:         120
        .size:           8
        .value_kind:     hidden_global_offset_x
      - .offset:         128
        .size:           8
        .value_kind:     hidden_global_offset_y
      - .offset:         136
        .size:           8
        .value_kind:     hidden_global_offset_z
      - .offset:         144
        .size:           2
        .value_kind:     hidden_grid_dims
    .group_segment_fixed_size: 0
    .kernarg_segment_align: 8
    .kernarg_segment_size: 336
    .language:       OpenCL C
    .language_version:
      - 2
      - 0
    .max_flat_workgroup_size: 1024
    .name:           _ZL16dequantize_blockILi32ELi2EXadL_ZL15dequantize_q5_1PKvliR15HIP_vector_typeIfLj2EEEE6__halfEvS1_PT2_lllS2_IjLj3EElll
    .private_segment_fixed_size: 0
    .sgpr_count:     43
    .sgpr_spill_count: 0
    .symbol:         _ZL16dequantize_blockILi32ELi2EXadL_ZL15dequantize_q5_1PKvliR15HIP_vector_typeIfLj2EEEE6__halfEvS1_PT2_lllS2_IjLj3EElll.kd
    .uniform_work_group_size: 1
    .uses_dynamic_stack: false
    .vgpr_count:     22
    .vgpr_spill_count: 0
    .wavefront_size: 64
  - .agpr_count:     0
    .args:
      - .actual_access:  read_only
        .address_space:  global
        .offset:         0
        .size:           8
        .value_kind:     global_buffer
      - .actual_access:  write_only
        .address_space:  global
        .offset:         8
        .size:           8
        .value_kind:     global_buffer
      - .offset:         16
        .size:           8
        .value_kind:     by_value
      - .offset:         24
        .size:           8
        .value_kind:     by_value
      - .offset:         32
        .size:           8
        .value_kind:     by_value
      - .offset:         40
        .size:           12
        .value_kind:     by_value
      - .offset:         56
        .size:           8
        .value_kind:     by_value
      - .offset:         64
        .size:           8
        .value_kind:     by_value
      - .offset:         72
        .size:           8
        .value_kind:     by_value
      - .offset:         80
        .size:           4
        .value_kind:     hidden_block_count_x
      - .offset:         84
        .size:           4
        .value_kind:     hidden_block_count_y
      - .offset:         88
        .size:           4
        .value_kind:     hidden_block_count_z
      - .offset:         92
        .size:           2
        .value_kind:     hidden_group_size_x
      - .offset:         94
        .size:           2
        .value_kind:     hidden_group_size_y
      - .offset:         96
        .size:           2
        .value_kind:     hidden_group_size_z
      - .offset:         98
        .size:           2
        .value_kind:     hidden_remainder_x
      - .offset:         100
        .size:           2
        .value_kind:     hidden_remainder_y
      - .offset:         102
        .size:           2
        .value_kind:     hidden_remainder_z
      - .offset:         120
        .size:           8
        .value_kind:     hidden_global_offset_x
      - .offset:         128
        .size:           8
        .value_kind:     hidden_global_offset_y
      - .offset:         136
        .size:           8
        .value_kind:     hidden_global_offset_z
      - .offset:         144
        .size:           2
        .value_kind:     hidden_grid_dims
    .group_segment_fixed_size: 0
    .kernarg_segment_align: 8
    .kernarg_segment_size: 336
    .language:       OpenCL C
    .language_version:
      - 2
      - 0
    .max_flat_workgroup_size: 1024
    .name:           _ZL16dequantize_blockILi32ELi1EXadL_ZL15dequantize_q8_0PKvliR15HIP_vector_typeIfLj2EEEE6__halfEvS1_PT2_lllS2_IjLj3EElll
    .private_segment_fixed_size: 0
    .sgpr_count:     43
    .sgpr_spill_count: 0
    .symbol:         _ZL16dequantize_blockILi32ELi1EXadL_ZL15dequantize_q8_0PKvliR15HIP_vector_typeIfLj2EEEE6__halfEvS1_PT2_lllS2_IjLj3EElll.kd
    .uniform_work_group_size: 1
    .uses_dynamic_stack: false
    .vgpr_count:     19
    .vgpr_spill_count: 0
    .wavefront_size: 64
  - .agpr_count:     0
    .args:
      - .actual_access:  read_only
        .address_space:  global
        .offset:         0
        .size:           8
        .value_kind:     global_buffer
      - .actual_access:  write_only
        .address_space:  global
        .offset:         8
        .size:           8
        .value_kind:     global_buffer
      - .offset:         16
        .size:           8
        .value_kind:     by_value
      - .offset:         24
        .size:           8
        .value_kind:     by_value
      - .offset:         32
        .size:           8
        .value_kind:     by_value
      - .offset:         40
        .size:           12
        .value_kind:     by_value
      - .offset:         56
        .size:           8
        .value_kind:     by_value
      - .offset:         64
        .size:           8
        .value_kind:     by_value
      - .offset:         72
        .size:           8
        .value_kind:     by_value
      - .offset:         80
        .size:           4
        .value_kind:     hidden_block_count_x
      - .offset:         84
        .size:           4
        .value_kind:     hidden_block_count_y
      - .offset:         88
        .size:           4
        .value_kind:     hidden_block_count_z
      - .offset:         92
        .size:           2
        .value_kind:     hidden_group_size_x
      - .offset:         94
        .size:           2
        .value_kind:     hidden_group_size_y
      - .offset:         96
        .size:           2
        .value_kind:     hidden_group_size_z
      - .offset:         98
        .size:           2
        .value_kind:     hidden_remainder_x
      - .offset:         100
        .size:           2
        .value_kind:     hidden_remainder_y
      - .offset:         102
        .size:           2
        .value_kind:     hidden_remainder_z
      - .offset:         120
        .size:           8
        .value_kind:     hidden_global_offset_x
      - .offset:         128
        .size:           8
        .value_kind:     hidden_global_offset_y
      - .offset:         136
        .size:           8
        .value_kind:     hidden_global_offset_z
      - .offset:         144
        .size:           2
        .value_kind:     hidden_grid_dims
    .group_segment_fixed_size: 0
    .kernarg_segment_align: 8
    .kernarg_segment_size: 336
    .language:       OpenCL C
    .language_version:
      - 2
      - 0
    .max_flat_workgroup_size: 1024
    .name:           _ZL13convert_unaryI14__hip_bfloat166__halfEvPKvPT0_lll15HIP_vector_typeIjLj3EElll
    .private_segment_fixed_size: 0
    .sgpr_count:     100
    .sgpr_spill_count: 41
    .symbol:         _ZL13convert_unaryI14__hip_bfloat166__halfEvPKvPT0_lll15HIP_vector_typeIjLj3EElll.kd
    .uniform_work_group_size: 1
    .uses_dynamic_stack: false
    .vgpr_count:     23
    .vgpr_spill_count: 0
    .wavefront_size: 64
  - .agpr_count:     0
    .args:
      - .actual_access:  read_only
        .address_space:  global
        .offset:         0
        .size:           8
        .value_kind:     global_buffer
      - .actual_access:  write_only
        .address_space:  global
        .offset:         8
        .size:           8
        .value_kind:     global_buffer
      - .offset:         16
        .size:           8
        .value_kind:     by_value
      - .offset:         24
        .size:           8
        .value_kind:     by_value
      - .offset:         32
        .size:           8
        .value_kind:     by_value
      - .offset:         40
        .size:           12
        .value_kind:     by_value
      - .offset:         56
        .size:           8
        .value_kind:     by_value
      - .offset:         64
        .size:           8
        .value_kind:     by_value
      - .offset:         72
        .size:           8
        .value_kind:     by_value
      - .offset:         80
        .size:           4
        .value_kind:     hidden_block_count_x
      - .offset:         84
        .size:           4
        .value_kind:     hidden_block_count_y
      - .offset:         88
        .size:           4
        .value_kind:     hidden_block_count_z
      - .offset:         92
        .size:           2
        .value_kind:     hidden_group_size_x
      - .offset:         94
        .size:           2
        .value_kind:     hidden_group_size_y
      - .offset:         96
        .size:           2
        .value_kind:     hidden_group_size_z
      - .offset:         98
        .size:           2
        .value_kind:     hidden_remainder_x
      - .offset:         100
        .size:           2
        .value_kind:     hidden_remainder_y
      - .offset:         102
        .size:           2
        .value_kind:     hidden_remainder_z
      - .offset:         120
        .size:           8
        .value_kind:     hidden_global_offset_x
      - .offset:         128
        .size:           8
        .value_kind:     hidden_global_offset_y
      - .offset:         136
        .size:           8
        .value_kind:     hidden_global_offset_z
      - .offset:         144
        .size:           2
        .value_kind:     hidden_grid_dims
    .group_segment_fixed_size: 0
    .kernarg_segment_align: 8
    .kernarg_segment_size: 336
    .language:       OpenCL C
    .language_version:
      - 2
      - 0
    .max_flat_workgroup_size: 1024
    .name:           _ZL13convert_unaryIf14__hip_bfloat16EvPKvPT0_lll15HIP_vector_typeIjLj3EElll
    .private_segment_fixed_size: 0
    .sgpr_count:     93
    .sgpr_spill_count: 0
    .symbol:         _ZL13convert_unaryIf14__hip_bfloat16EvPKvPT0_lll15HIP_vector_typeIjLj3EElll.kd
    .uniform_work_group_size: 1
    .uses_dynamic_stack: false
    .vgpr_count:     20
    .vgpr_spill_count: 0
    .wavefront_size: 64
  - .agpr_count:     0
    .args:
      - .actual_access:  read_only
        .address_space:  global
        .offset:         0
        .size:           8
        .value_kind:     global_buffer
      - .actual_access:  write_only
        .address_space:  global
        .offset:         8
        .size:           8
        .value_kind:     global_buffer
      - .offset:         16
        .size:           8
        .value_kind:     by_value
      - .offset:         24
        .size:           8
        .value_kind:     by_value
      - .offset:         32
        .size:           8
        .value_kind:     by_value
      - .offset:         40
        .size:           12
        .value_kind:     by_value
      - .offset:         56
        .size:           8
        .value_kind:     by_value
      - .offset:         64
        .size:           8
        .value_kind:     by_value
      - .offset:         72
        .size:           8
        .value_kind:     by_value
      - .offset:         80
        .size:           4
        .value_kind:     hidden_block_count_x
      - .offset:         84
        .size:           4
        .value_kind:     hidden_block_count_y
      - .offset:         88
        .size:           4
        .value_kind:     hidden_block_count_z
      - .offset:         92
        .size:           2
        .value_kind:     hidden_group_size_x
      - .offset:         94
        .size:           2
        .value_kind:     hidden_group_size_y
      - .offset:         96
        .size:           2
        .value_kind:     hidden_group_size_z
      - .offset:         98
        .size:           2
        .value_kind:     hidden_remainder_x
      - .offset:         100
        .size:           2
        .value_kind:     hidden_remainder_y
      - .offset:         102
        .size:           2
        .value_kind:     hidden_remainder_z
      - .offset:         120
        .size:           8
        .value_kind:     hidden_global_offset_x
      - .offset:         128
        .size:           8
        .value_kind:     hidden_global_offset_y
      - .offset:         136
        .size:           8
        .value_kind:     hidden_global_offset_z
      - .offset:         144
        .size:           2
        .value_kind:     hidden_grid_dims
    .group_segment_fixed_size: 0
    .kernarg_segment_align: 8
    .kernarg_segment_size: 336
    .language:       OpenCL C
    .language_version:
      - 2
      - 0
    .max_flat_workgroup_size: 1024
    .name:           _ZL16dequantize_blockILi128ELi1EXadL_ZL15dequantize_q1_0PKvliR15HIP_vector_typeIfLj2EEEE14__hip_bfloat16EvS1_PT2_lllS2_IjLj3EElll
    .private_segment_fixed_size: 0
    .sgpr_count:     41
    .sgpr_spill_count: 0
    .symbol:         _ZL16dequantize_blockILi128ELi1EXadL_ZL15dequantize_q1_0PKvliR15HIP_vector_typeIfLj2EEEE14__hip_bfloat16EvS1_PT2_lllS2_IjLj3EElll.kd
    .uniform_work_group_size: 1
    .uses_dynamic_stack: false
    .vgpr_count:     22
    .vgpr_spill_count: 0
    .wavefront_size: 64
  - .agpr_count:     0
    .args:
      - .actual_access:  read_only
        .address_space:  global
        .offset:         0
        .size:           8
        .value_kind:     global_buffer
      - .actual_access:  write_only
        .address_space:  global
        .offset:         8
        .size:           8
        .value_kind:     global_buffer
      - .offset:         16
        .size:           8
        .value_kind:     by_value
      - .offset:         24
        .size:           8
        .value_kind:     by_value
      - .offset:         32
        .size:           8
        .value_kind:     by_value
      - .offset:         40
        .size:           12
        .value_kind:     by_value
      - .offset:         56
        .size:           8
        .value_kind:     by_value
      - .offset:         64
        .size:           8
        .value_kind:     by_value
      - .offset:         72
        .size:           8
        .value_kind:     by_value
      - .offset:         80
        .size:           4
        .value_kind:     hidden_block_count_x
      - .offset:         84
        .size:           4
        .value_kind:     hidden_block_count_y
      - .offset:         88
        .size:           4
        .value_kind:     hidden_block_count_z
      - .offset:         92
        .size:           2
        .value_kind:     hidden_group_size_x
      - .offset:         94
        .size:           2
        .value_kind:     hidden_group_size_y
      - .offset:         96
        .size:           2
        .value_kind:     hidden_group_size_z
      - .offset:         98
        .size:           2
        .value_kind:     hidden_remainder_x
      - .offset:         100
        .size:           2
        .value_kind:     hidden_remainder_y
      - .offset:         102
        .size:           2
        .value_kind:     hidden_remainder_z
      - .offset:         120
        .size:           8
        .value_kind:     hidden_global_offset_x
      - .offset:         128
        .size:           8
        .value_kind:     hidden_global_offset_y
      - .offset:         136
        .size:           8
        .value_kind:     hidden_global_offset_z
      - .offset:         144
        .size:           2
        .value_kind:     hidden_grid_dims
    .group_segment_fixed_size: 0
    .kernarg_segment_align: 8
    .kernarg_segment_size: 336
    .language:       OpenCL C
    .language_version:
      - 2
      - 0
    .max_flat_workgroup_size: 1024
    .name:           _ZL16dequantize_blockILi32ELi2EXadL_ZL15dequantize_q4_0PKvliR15HIP_vector_typeIfLj2EEEE14__hip_bfloat16EvS1_PT2_lllS2_IjLj3EElll
    .private_segment_fixed_size: 0
    .sgpr_count:     41
    .sgpr_spill_count: 0
    .symbol:         _ZL16dequantize_blockILi32ELi2EXadL_ZL15dequantize_q4_0PKvliR15HIP_vector_typeIfLj2EEEE14__hip_bfloat16EvS1_PT2_lllS2_IjLj3EElll.kd
    .uniform_work_group_size: 1
    .uses_dynamic_stack: false
    .vgpr_count:     20
    .vgpr_spill_count: 0
    .wavefront_size: 64
  - .agpr_count:     0
    .args:
      - .actual_access:  read_only
        .address_space:  global
        .offset:         0
        .size:           8
        .value_kind:     global_buffer
      - .actual_access:  write_only
        .address_space:  global
        .offset:         8
        .size:           8
        .value_kind:     global_buffer
      - .offset:         16
        .size:           8
        .value_kind:     by_value
      - .offset:         24
        .size:           8
        .value_kind:     by_value
      - .offset:         32
        .size:           8
        .value_kind:     by_value
      - .offset:         40
        .size:           12
        .value_kind:     by_value
      - .offset:         56
        .size:           8
        .value_kind:     by_value
      - .offset:         64
        .size:           8
        .value_kind:     by_value
      - .offset:         72
        .size:           8
        .value_kind:     by_value
      - .offset:         80
        .size:           4
        .value_kind:     hidden_block_count_x
      - .offset:         84
        .size:           4
        .value_kind:     hidden_block_count_y
      - .offset:         88
        .size:           4
        .value_kind:     hidden_block_count_z
      - .offset:         92
        .size:           2
        .value_kind:     hidden_group_size_x
      - .offset:         94
        .size:           2
        .value_kind:     hidden_group_size_y
      - .offset:         96
        .size:           2
        .value_kind:     hidden_group_size_z
      - .offset:         98
        .size:           2
        .value_kind:     hidden_remainder_x
      - .offset:         100
        .size:           2
        .value_kind:     hidden_remainder_y
      - .offset:         102
        .size:           2
        .value_kind:     hidden_remainder_z
      - .offset:         120
        .size:           8
        .value_kind:     hidden_global_offset_x
      - .offset:         128
        .size:           8
        .value_kind:     hidden_global_offset_y
      - .offset:         136
        .size:           8
        .value_kind:     hidden_global_offset_z
      - .offset:         144
        .size:           2
        .value_kind:     hidden_grid_dims
    .group_segment_fixed_size: 0
    .kernarg_segment_align: 8
    .kernarg_segment_size: 336
    .language:       OpenCL C
    .language_version:
      - 2
      - 0
    .max_flat_workgroup_size: 1024
    .name:           _ZL16dequantize_blockILi32ELi2EXadL_ZL15dequantize_q4_1PKvliR15HIP_vector_typeIfLj2EEEE14__hip_bfloat16EvS1_PT2_lllS2_IjLj3EElll
    .private_segment_fixed_size: 0
    .sgpr_count:     41
    .sgpr_spill_count: 0
    .symbol:         _ZL16dequantize_blockILi32ELi2EXadL_ZL15dequantize_q4_1PKvliR15HIP_vector_typeIfLj2EEEE14__hip_bfloat16EvS1_PT2_lllS2_IjLj3EElll.kd
    .uniform_work_group_size: 1
    .uses_dynamic_stack: false
    .vgpr_count:     20
    .vgpr_spill_count: 0
    .wavefront_size: 64
  - .agpr_count:     0
    .args:
      - .actual_access:  read_only
        .address_space:  global
        .offset:         0
        .size:           8
        .value_kind:     global_buffer
      - .actual_access:  write_only
        .address_space:  global
        .offset:         8
        .size:           8
        .value_kind:     global_buffer
      - .offset:         16
        .size:           8
        .value_kind:     by_value
      - .offset:         24
        .size:           8
        .value_kind:     by_value
      - .offset:         32
        .size:           8
        .value_kind:     by_value
      - .offset:         40
        .size:           12
        .value_kind:     by_value
      - .offset:         56
        .size:           8
        .value_kind:     by_value
      - .offset:         64
        .size:           8
        .value_kind:     by_value
      - .offset:         72
        .size:           8
        .value_kind:     by_value
      - .offset:         80
        .size:           4
        .value_kind:     hidden_block_count_x
      - .offset:         84
        .size:           4
        .value_kind:     hidden_block_count_y
      - .offset:         88
        .size:           4
        .value_kind:     hidden_block_count_z
      - .offset:         92
        .size:           2
        .value_kind:     hidden_group_size_x
      - .offset:         94
        .size:           2
        .value_kind:     hidden_group_size_y
      - .offset:         96
        .size:           2
        .value_kind:     hidden_group_size_z
      - .offset:         98
        .size:           2
        .value_kind:     hidden_remainder_x
      - .offset:         100
        .size:           2
        .value_kind:     hidden_remainder_y
      - .offset:         102
        .size:           2
        .value_kind:     hidden_remainder_z
      - .offset:         120
        .size:           8
        .value_kind:     hidden_global_offset_x
      - .offset:         128
        .size:           8
        .value_kind:     hidden_global_offset_y
      - .offset:         136
        .size:           8
        .value_kind:     hidden_global_offset_z
      - .offset:         144
        .size:           2
        .value_kind:     hidden_grid_dims
    .group_segment_fixed_size: 0
    .kernarg_segment_align: 8
    .kernarg_segment_size: 336
    .language:       OpenCL C
    .language_version:
      - 2
      - 0
    .max_flat_workgroup_size: 1024
    .name:           _ZL16dequantize_blockILi32ELi2EXadL_ZL15dequantize_q5_0PKvliR15HIP_vector_typeIfLj2EEEE14__hip_bfloat16EvS1_PT2_lllS2_IjLj3EElll
    .private_segment_fixed_size: 0
    .sgpr_count:     42
    .sgpr_spill_count: 0
    .symbol:         _ZL16dequantize_blockILi32ELi2EXadL_ZL15dequantize_q5_0PKvliR15HIP_vector_typeIfLj2EEEE14__hip_bfloat16EvS1_PT2_lllS2_IjLj3EElll.kd
    .uniform_work_group_size: 1
    .uses_dynamic_stack: false
    .vgpr_count:     20
    .vgpr_spill_count: 0
    .wavefront_size: 64
  - .agpr_count:     0
    .args:
      - .actual_access:  read_only
        .address_space:  global
        .offset:         0
        .size:           8
        .value_kind:     global_buffer
      - .actual_access:  write_only
        .address_space:  global
        .offset:         8
        .size:           8
        .value_kind:     global_buffer
      - .offset:         16
        .size:           8
        .value_kind:     by_value
      - .offset:         24
        .size:           8
        .value_kind:     by_value
      - .offset:         32
        .size:           8
        .value_kind:     by_value
      - .offset:         40
        .size:           12
        .value_kind:     by_value
      - .offset:         56
        .size:           8
        .value_kind:     by_value
      - .offset:         64
        .size:           8
        .value_kind:     by_value
      - .offset:         72
        .size:           8
        .value_kind:     by_value
      - .offset:         80
        .size:           4
        .value_kind:     hidden_block_count_x
      - .offset:         84
        .size:           4
        .value_kind:     hidden_block_count_y
      - .offset:         88
        .size:           4
        .value_kind:     hidden_block_count_z
      - .offset:         92
        .size:           2
        .value_kind:     hidden_group_size_x
      - .offset:         94
        .size:           2
        .value_kind:     hidden_group_size_y
      - .offset:         96
        .size:           2
        .value_kind:     hidden_group_size_z
      - .offset:         98
        .size:           2
        .value_kind:     hidden_remainder_x
      - .offset:         100
        .size:           2
        .value_kind:     hidden_remainder_y
      - .offset:         102
        .size:           2
        .value_kind:     hidden_remainder_z
      - .offset:         120
        .size:           8
        .value_kind:     hidden_global_offset_x
      - .offset:         128
        .size:           8
        .value_kind:     hidden_global_offset_y
      - .offset:         136
        .size:           8
        .value_kind:     hidden_global_offset_z
      - .offset:         144
        .size:           2
        .value_kind:     hidden_grid_dims
    .group_segment_fixed_size: 0
    .kernarg_segment_align: 8
    .kernarg_segment_size: 336
    .language:       OpenCL C
    .language_version:
      - 2
      - 0
    .max_flat_workgroup_size: 1024
    .name:           _ZL16dequantize_blockILi32ELi2EXadL_ZL15dequantize_q5_1PKvliR15HIP_vector_typeIfLj2EEEE14__hip_bfloat16EvS1_PT2_lllS2_IjLj3EElll
    .private_segment_fixed_size: 0
    .sgpr_count:     41
    .sgpr_spill_count: 0
    .symbol:         _ZL16dequantize_blockILi32ELi2EXadL_ZL15dequantize_q5_1PKvliR15HIP_vector_typeIfLj2EEEE14__hip_bfloat16EvS1_PT2_lllS2_IjLj3EElll.kd
    .uniform_work_group_size: 1
    .uses_dynamic_stack: false
    .vgpr_count:     23
    .vgpr_spill_count: 0
    .wavefront_size: 64
  - .agpr_count:     0
    .args:
      - .actual_access:  read_only
        .address_space:  global
        .offset:         0
        .size:           8
        .value_kind:     global_buffer
      - .actual_access:  write_only
        .address_space:  global
        .offset:         8
        .size:           8
        .value_kind:     global_buffer
      - .offset:         16
        .size:           8
        .value_kind:     by_value
      - .offset:         24
        .size:           8
        .value_kind:     by_value
      - .offset:         32
        .size:           8
        .value_kind:     by_value
      - .offset:         40
        .size:           12
        .value_kind:     by_value
      - .offset:         56
        .size:           8
        .value_kind:     by_value
      - .offset:         64
        .size:           8
        .value_kind:     by_value
      - .offset:         72
        .size:           8
        .value_kind:     by_value
      - .offset:         80
        .size:           4
        .value_kind:     hidden_block_count_x
      - .offset:         84
        .size:           4
        .value_kind:     hidden_block_count_y
      - .offset:         88
        .size:           4
        .value_kind:     hidden_block_count_z
      - .offset:         92
        .size:           2
        .value_kind:     hidden_group_size_x
      - .offset:         94
        .size:           2
        .value_kind:     hidden_group_size_y
      - .offset:         96
        .size:           2
        .value_kind:     hidden_group_size_z
      - .offset:         98
        .size:           2
        .value_kind:     hidden_remainder_x
      - .offset:         100
        .size:           2
        .value_kind:     hidden_remainder_y
      - .offset:         102
        .size:           2
        .value_kind:     hidden_remainder_z
      - .offset:         120
        .size:           8
        .value_kind:     hidden_global_offset_x
      - .offset:         128
        .size:           8
        .value_kind:     hidden_global_offset_y
      - .offset:         136
        .size:           8
        .value_kind:     hidden_global_offset_z
      - .offset:         144
        .size:           2
        .value_kind:     hidden_grid_dims
    .group_segment_fixed_size: 0
    .kernarg_segment_align: 8
    .kernarg_segment_size: 336
    .language:       OpenCL C
    .language_version:
      - 2
      - 0
    .max_flat_workgroup_size: 1024
    .name:           _ZL16dequantize_blockILi32ELi1EXadL_ZL15dequantize_q8_0PKvliR15HIP_vector_typeIfLj2EEEE14__hip_bfloat16EvS1_PT2_lllS2_IjLj3EElll
    .private_segment_fixed_size: 0
    .sgpr_count:     41
    .sgpr_spill_count: 0
    .symbol:         _ZL16dequantize_blockILi32ELi1EXadL_ZL15dequantize_q8_0PKvliR15HIP_vector_typeIfLj2EEEE14__hip_bfloat16EvS1_PT2_lllS2_IjLj3EElll.kd
    .uniform_work_group_size: 1
    .uses_dynamic_stack: false
    .vgpr_count:     20
    .vgpr_spill_count: 0
    .wavefront_size: 64
  - .agpr_count:     0
    .args:
      - .actual_access:  read_only
        .address_space:  global
        .offset:         0
        .size:           8
        .value_kind:     global_buffer
      - .actual_access:  write_only
        .address_space:  global
        .offset:         8
        .size:           8
        .value_kind:     global_buffer
      - .offset:         16
        .size:           8
        .value_kind:     by_value
      - .offset:         24
        .size:           8
        .value_kind:     by_value
      - .offset:         32
        .size:           8
        .value_kind:     by_value
      - .offset:         40
        .size:           12
        .value_kind:     by_value
      - .offset:         56
        .size:           8
        .value_kind:     by_value
      - .offset:         64
        .size:           8
        .value_kind:     by_value
      - .offset:         72
        .size:           8
        .value_kind:     by_value
      - .offset:         80
        .size:           4
        .value_kind:     hidden_block_count_x
      - .offset:         84
        .size:           4
        .value_kind:     hidden_block_count_y
      - .offset:         88
        .size:           4
        .value_kind:     hidden_block_count_z
      - .offset:         92
        .size:           2
        .value_kind:     hidden_group_size_x
      - .offset:         94
        .size:           2
        .value_kind:     hidden_group_size_y
      - .offset:         96
        .size:           2
        .value_kind:     hidden_group_size_z
      - .offset:         98
        .size:           2
        .value_kind:     hidden_remainder_x
      - .offset:         100
        .size:           2
        .value_kind:     hidden_remainder_y
      - .offset:         102
        .size:           2
        .value_kind:     hidden_remainder_z
      - .offset:         120
        .size:           8
        .value_kind:     hidden_global_offset_x
      - .offset:         128
        .size:           8
        .value_kind:     hidden_global_offset_y
      - .offset:         136
        .size:           8
        .value_kind:     hidden_global_offset_z
      - .offset:         144
        .size:           2
        .value_kind:     hidden_grid_dims
    .group_segment_fixed_size: 0
    .kernarg_segment_align: 8
    .kernarg_segment_size: 336
    .language:       OpenCL C
    .language_version:
      - 2
      - 0
    .max_flat_workgroup_size: 1024
    .name:           _ZL13convert_unaryI6__half14__hip_bfloat16EvPKvPT0_lll15HIP_vector_typeIjLj3EElll
    .private_segment_fixed_size: 0
    .sgpr_count:     100
    .sgpr_spill_count: 43
    .symbol:         _ZL13convert_unaryI6__half14__hip_bfloat16EvPKvPT0_lll15HIP_vector_typeIjLj3EElll.kd
    .uniform_work_group_size: 1
    .uses_dynamic_stack: false
    .vgpr_count:     27
    .vgpr_spill_count: 0
    .wavefront_size: 64
  - .agpr_count:     0
    .args:
      - .actual_access:  read_only
        .address_space:  global
        .offset:         0
        .size:           8
        .value_kind:     global_buffer
      - .actual_access:  write_only
        .address_space:  global
        .offset:         8
        .size:           8
        .value_kind:     global_buffer
      - .offset:         16
        .size:           8
        .value_kind:     by_value
      - .offset:         24
        .size:           8
        .value_kind:     by_value
      - .offset:         32
        .size:           8
        .value_kind:     by_value
      - .offset:         40
        .size:           12
        .value_kind:     by_value
      - .offset:         56
        .size:           8
        .value_kind:     by_value
      - .offset:         64
        .size:           8
        .value_kind:     by_value
      - .offset:         72
        .size:           8
        .value_kind:     by_value
      - .offset:         80
        .size:           4
        .value_kind:     hidden_block_count_x
      - .offset:         84
        .size:           4
        .value_kind:     hidden_block_count_y
      - .offset:         88
        .size:           4
        .value_kind:     hidden_block_count_z
      - .offset:         92
        .size:           2
        .value_kind:     hidden_group_size_x
      - .offset:         94
        .size:           2
        .value_kind:     hidden_group_size_y
      - .offset:         96
        .size:           2
        .value_kind:     hidden_group_size_z
      - .offset:         98
        .size:           2
        .value_kind:     hidden_remainder_x
      - .offset:         100
        .size:           2
        .value_kind:     hidden_remainder_y
      - .offset:         102
        .size:           2
        .value_kind:     hidden_remainder_z
      - .offset:         120
        .size:           8
        .value_kind:     hidden_global_offset_x
      - .offset:         128
        .size:           8
        .value_kind:     hidden_global_offset_y
      - .offset:         136
        .size:           8
        .value_kind:     hidden_global_offset_z
      - .offset:         144
        .size:           2
        .value_kind:     hidden_grid_dims
    .group_segment_fixed_size: 0
    .kernarg_segment_align: 8
    .kernarg_segment_size: 336
    .language:       OpenCL C
    .language_version:
      - 2
      - 0
    .max_flat_workgroup_size: 1024
    .name:           _ZL13convert_unaryI6__halffEvPKvPT0_lll15HIP_vector_typeIjLj3EElll
    .private_segment_fixed_size: 0
    .sgpr_count:     91
    .sgpr_spill_count: 0
    .symbol:         _ZL13convert_unaryI6__halffEvPKvPT0_lll15HIP_vector_typeIjLj3EElll.kd
    .uniform_work_group_size: 1
    .uses_dynamic_stack: false
    .vgpr_count:     16
    .vgpr_spill_count: 0
    .wavefront_size: 64
  - .agpr_count:     0
    .args:
      - .actual_access:  read_only
        .address_space:  global
        .offset:         0
        .size:           8
        .value_kind:     global_buffer
      - .actual_access:  write_only
        .address_space:  global
        .offset:         8
        .size:           8
        .value_kind:     global_buffer
      - .offset:         16
        .size:           8
        .value_kind:     by_value
      - .offset:         24
        .size:           8
        .value_kind:     by_value
      - .offset:         32
        .size:           8
        .value_kind:     by_value
      - .offset:         40
        .size:           12
        .value_kind:     by_value
      - .offset:         56
        .size:           8
        .value_kind:     by_value
      - .offset:         64
        .size:           8
        .value_kind:     by_value
      - .offset:         72
        .size:           8
        .value_kind:     by_value
      - .offset:         80
        .size:           4
        .value_kind:     hidden_block_count_x
      - .offset:         84
        .size:           4
        .value_kind:     hidden_block_count_y
      - .offset:         88
        .size:           4
        .value_kind:     hidden_block_count_z
      - .offset:         92
        .size:           2
        .value_kind:     hidden_group_size_x
      - .offset:         94
        .size:           2
        .value_kind:     hidden_group_size_y
      - .offset:         96
        .size:           2
        .value_kind:     hidden_group_size_z
      - .offset:         98
        .size:           2
        .value_kind:     hidden_remainder_x
      - .offset:         100
        .size:           2
        .value_kind:     hidden_remainder_y
      - .offset:         102
        .size:           2
        .value_kind:     hidden_remainder_z
      - .offset:         120
        .size:           8
        .value_kind:     hidden_global_offset_x
      - .offset:         128
        .size:           8
        .value_kind:     hidden_global_offset_y
      - .offset:         136
        .size:           8
        .value_kind:     hidden_global_offset_z
      - .offset:         144
        .size:           2
        .value_kind:     hidden_grid_dims
    .group_segment_fixed_size: 0
    .kernarg_segment_align: 8
    .kernarg_segment_size: 336
    .language:       OpenCL C
    .language_version:
      - 2
      - 0
    .max_flat_workgroup_size: 1024
    .name:           _ZL16dequantize_blockILi128ELi1EXadL_ZL15dequantize_q1_0PKvliR15HIP_vector_typeIfLj2EEEEfEvS1_PT2_lllS2_IjLj3EElll
    .private_segment_fixed_size: 0
    .sgpr_count:     43
    .sgpr_spill_count: 0
    .symbol:         _ZL16dequantize_blockILi128ELi1EXadL_ZL15dequantize_q1_0PKvliR15HIP_vector_typeIfLj2EEEEfEvS1_PT2_lllS2_IjLj3EElll.kd
    .uniform_work_group_size: 1
    .uses_dynamic_stack: false
    .vgpr_count:     21
    .vgpr_spill_count: 0
    .wavefront_size: 64
  - .agpr_count:     0
    .args:
      - .actual_access:  read_only
        .address_space:  global
        .offset:         0
        .size:           8
        .value_kind:     global_buffer
      - .actual_access:  write_only
        .address_space:  global
        .offset:         8
        .size:           8
        .value_kind:     global_buffer
      - .offset:         16
        .size:           8
        .value_kind:     by_value
      - .offset:         24
        .size:           8
        .value_kind:     by_value
      - .offset:         32
        .size:           8
        .value_kind:     by_value
      - .offset:         40
        .size:           12
        .value_kind:     by_value
      - .offset:         56
        .size:           8
        .value_kind:     by_value
      - .offset:         64
        .size:           8
        .value_kind:     by_value
      - .offset:         72
        .size:           8
        .value_kind:     by_value
      - .offset:         80
        .size:           4
        .value_kind:     hidden_block_count_x
      - .offset:         84
        .size:           4
        .value_kind:     hidden_block_count_y
      - .offset:         88
        .size:           4
        .value_kind:     hidden_block_count_z
      - .offset:         92
        .size:           2
        .value_kind:     hidden_group_size_x
      - .offset:         94
        .size:           2
        .value_kind:     hidden_group_size_y
      - .offset:         96
        .size:           2
        .value_kind:     hidden_group_size_z
      - .offset:         98
        .size:           2
        .value_kind:     hidden_remainder_x
      - .offset:         100
        .size:           2
        .value_kind:     hidden_remainder_y
      - .offset:         102
        .size:           2
        .value_kind:     hidden_remainder_z
      - .offset:         120
        .size:           8
        .value_kind:     hidden_global_offset_x
      - .offset:         128
        .size:           8
        .value_kind:     hidden_global_offset_y
      - .offset:         136
        .size:           8
        .value_kind:     hidden_global_offset_z
      - .offset:         144
        .size:           2
        .value_kind:     hidden_grid_dims
    .group_segment_fixed_size: 0
    .kernarg_segment_align: 8
    .kernarg_segment_size: 336
    .language:       OpenCL C
    .language_version:
      - 2
      - 0
    .max_flat_workgroup_size: 1024
    .name:           _ZL16dequantize_blockILi32ELi2EXadL_ZL15dequantize_q4_0PKvliR15HIP_vector_typeIfLj2EEEEfEvS1_PT2_lllS2_IjLj3EElll
    .private_segment_fixed_size: 0
    .sgpr_count:     43
    .sgpr_spill_count: 0
    .symbol:         _ZL16dequantize_blockILi32ELi2EXadL_ZL15dequantize_q4_0PKvliR15HIP_vector_typeIfLj2EEEEfEvS1_PT2_lllS2_IjLj3EElll.kd
    .uniform_work_group_size: 1
    .uses_dynamic_stack: false
    .vgpr_count:     19
    .vgpr_spill_count: 0
    .wavefront_size: 64
  - .agpr_count:     0
    .args:
      - .actual_access:  read_only
        .address_space:  global
        .offset:         0
        .size:           8
        .value_kind:     global_buffer
      - .actual_access:  write_only
        .address_space:  global
        .offset:         8
        .size:           8
        .value_kind:     global_buffer
      - .offset:         16
        .size:           8
        .value_kind:     by_value
      - .offset:         24
        .size:           8
        .value_kind:     by_value
      - .offset:         32
        .size:           8
        .value_kind:     by_value
      - .offset:         40
        .size:           12
        .value_kind:     by_value
      - .offset:         56
        .size:           8
        .value_kind:     by_value
      - .offset:         64
        .size:           8
        .value_kind:     by_value
      - .offset:         72
        .size:           8
        .value_kind:     by_value
      - .offset:         80
        .size:           4
        .value_kind:     hidden_block_count_x
      - .offset:         84
        .size:           4
        .value_kind:     hidden_block_count_y
      - .offset:         88
        .size:           4
        .value_kind:     hidden_block_count_z
      - .offset:         92
        .size:           2
        .value_kind:     hidden_group_size_x
      - .offset:         94
        .size:           2
        .value_kind:     hidden_group_size_y
      - .offset:         96
        .size:           2
        .value_kind:     hidden_group_size_z
      - .offset:         98
        .size:           2
        .value_kind:     hidden_remainder_x
      - .offset:         100
        .size:           2
        .value_kind:     hidden_remainder_y
      - .offset:         102
        .size:           2
        .value_kind:     hidden_remainder_z
      - .offset:         120
        .size:           8
        .value_kind:     hidden_global_offset_x
      - .offset:         128
        .size:           8
        .value_kind:     hidden_global_offset_y
      - .offset:         136
        .size:           8
        .value_kind:     hidden_global_offset_z
      - .offset:         144
        .size:           2
        .value_kind:     hidden_grid_dims
    .group_segment_fixed_size: 0
    .kernarg_segment_align: 8
    .kernarg_segment_size: 336
    .language:       OpenCL C
    .language_version:
      - 2
      - 0
    .max_flat_workgroup_size: 1024
    .name:           _ZL16dequantize_blockILi32ELi2EXadL_ZL15dequantize_q4_1PKvliR15HIP_vector_typeIfLj2EEEEfEvS1_PT2_lllS2_IjLj3EElll
    .private_segment_fixed_size: 0
    .sgpr_count:     43
    .sgpr_spill_count: 0
    .symbol:         _ZL16dequantize_blockILi32ELi2EXadL_ZL15dequantize_q4_1PKvliR15HIP_vector_typeIfLj2EEEEfEvS1_PT2_lllS2_IjLj3EElll.kd
    .uniform_work_group_size: 1
    .uses_dynamic_stack: false
    .vgpr_count:     19
    .vgpr_spill_count: 0
    .wavefront_size: 64
  - .agpr_count:     0
    .args:
      - .actual_access:  read_only
        .address_space:  global
        .offset:         0
        .size:           8
        .value_kind:     global_buffer
      - .actual_access:  write_only
        .address_space:  global
        .offset:         8
        .size:           8
        .value_kind:     global_buffer
      - .offset:         16
        .size:           8
        .value_kind:     by_value
      - .offset:         24
        .size:           8
        .value_kind:     by_value
      - .offset:         32
        .size:           8
        .value_kind:     by_value
      - .offset:         40
        .size:           12
        .value_kind:     by_value
      - .offset:         56
        .size:           8
        .value_kind:     by_value
      - .offset:         64
        .size:           8
        .value_kind:     by_value
      - .offset:         72
        .size:           8
        .value_kind:     by_value
      - .offset:         80
        .size:           4
        .value_kind:     hidden_block_count_x
      - .offset:         84
        .size:           4
        .value_kind:     hidden_block_count_y
      - .offset:         88
        .size:           4
        .value_kind:     hidden_block_count_z
      - .offset:         92
        .size:           2
        .value_kind:     hidden_group_size_x
      - .offset:         94
        .size:           2
        .value_kind:     hidden_group_size_y
      - .offset:         96
        .size:           2
        .value_kind:     hidden_group_size_z
      - .offset:         98
        .size:           2
        .value_kind:     hidden_remainder_x
      - .offset:         100
        .size:           2
        .value_kind:     hidden_remainder_y
      - .offset:         102
        .size:           2
        .value_kind:     hidden_remainder_z
      - .offset:         120
        .size:           8
        .value_kind:     hidden_global_offset_x
      - .offset:         128
        .size:           8
        .value_kind:     hidden_global_offset_y
      - .offset:         136
        .size:           8
        .value_kind:     hidden_global_offset_z
      - .offset:         144
        .size:           2
        .value_kind:     hidden_grid_dims
    .group_segment_fixed_size: 0
    .kernarg_segment_align: 8
    .kernarg_segment_size: 336
    .language:       OpenCL C
    .language_version:
      - 2
      - 0
    .max_flat_workgroup_size: 1024
    .name:           _ZL16dequantize_blockILi32ELi2EXadL_ZL15dequantize_q5_0PKvliR15HIP_vector_typeIfLj2EEEEfEvS1_PT2_lllS2_IjLj3EElll
    .private_segment_fixed_size: 0
    .sgpr_count:     44
    .sgpr_spill_count: 0
    .symbol:         _ZL16dequantize_blockILi32ELi2EXadL_ZL15dequantize_q5_0PKvliR15HIP_vector_typeIfLj2EEEEfEvS1_PT2_lllS2_IjLj3EElll.kd
    .uniform_work_group_size: 1
    .uses_dynamic_stack: false
    .vgpr_count:     20
    .vgpr_spill_count: 0
    .wavefront_size: 64
  - .agpr_count:     0
    .args:
      - .actual_access:  read_only
        .address_space:  global
        .offset:         0
        .size:           8
        .value_kind:     global_buffer
      - .actual_access:  write_only
        .address_space:  global
        .offset:         8
        .size:           8
        .value_kind:     global_buffer
      - .offset:         16
        .size:           8
        .value_kind:     by_value
      - .offset:         24
        .size:           8
        .value_kind:     by_value
      - .offset:         32
        .size:           8
        .value_kind:     by_value
      - .offset:         40
        .size:           12
        .value_kind:     by_value
      - .offset:         56
        .size:           8
        .value_kind:     by_value
      - .offset:         64
        .size:           8
        .value_kind:     by_value
      - .offset:         72
        .size:           8
        .value_kind:     by_value
      - .offset:         80
        .size:           4
        .value_kind:     hidden_block_count_x
      - .offset:         84
        .size:           4
        .value_kind:     hidden_block_count_y
      - .offset:         88
        .size:           4
        .value_kind:     hidden_block_count_z
      - .offset:         92
        .size:           2
        .value_kind:     hidden_group_size_x
      - .offset:         94
        .size:           2
        .value_kind:     hidden_group_size_y
      - .offset:         96
        .size:           2
        .value_kind:     hidden_group_size_z
      - .offset:         98
        .size:           2
        .value_kind:     hidden_remainder_x
      - .offset:         100
        .size:           2
        .value_kind:     hidden_remainder_y
      - .offset:         102
        .size:           2
        .value_kind:     hidden_remainder_z
      - .offset:         120
        .size:           8
        .value_kind:     hidden_global_offset_x
      - .offset:         128
        .size:           8
        .value_kind:     hidden_global_offset_y
      - .offset:         136
        .size:           8
        .value_kind:     hidden_global_offset_z
      - .offset:         144
        .size:           2
        .value_kind:     hidden_grid_dims
    .group_segment_fixed_size: 0
    .kernarg_segment_align: 8
    .kernarg_segment_size: 336
    .language:       OpenCL C
    .language_version:
      - 2
      - 0
    .max_flat_workgroup_size: 1024
    .name:           _ZL16dequantize_blockILi32ELi2EXadL_ZL15dequantize_q5_1PKvliR15HIP_vector_typeIfLj2EEEEfEvS1_PT2_lllS2_IjLj3EElll
    .private_segment_fixed_size: 0
    .sgpr_count:     43
    .sgpr_spill_count: 0
    .symbol:         _ZL16dequantize_blockILi32ELi2EXadL_ZL15dequantize_q5_1PKvliR15HIP_vector_typeIfLj2EEEEfEvS1_PT2_lllS2_IjLj3EElll.kd
    .uniform_work_group_size: 1
    .uses_dynamic_stack: false
    .vgpr_count:     22
    .vgpr_spill_count: 0
    .wavefront_size: 64
  - .agpr_count:     0
    .args:
      - .actual_access:  read_only
        .address_space:  global
        .offset:         0
        .size:           8
        .value_kind:     global_buffer
      - .actual_access:  write_only
        .address_space:  global
        .offset:         8
        .size:           8
        .value_kind:     global_buffer
      - .offset:         16
        .size:           8
        .value_kind:     by_value
      - .offset:         24
        .size:           8
        .value_kind:     by_value
      - .offset:         32
        .size:           8
        .value_kind:     by_value
      - .offset:         40
        .size:           12
        .value_kind:     by_value
      - .offset:         56
        .size:           8
        .value_kind:     by_value
      - .offset:         64
        .size:           8
        .value_kind:     by_value
      - .offset:         72
        .size:           8
        .value_kind:     by_value
      - .offset:         80
        .size:           4
        .value_kind:     hidden_block_count_x
      - .offset:         84
        .size:           4
        .value_kind:     hidden_block_count_y
      - .offset:         88
        .size:           4
        .value_kind:     hidden_block_count_z
      - .offset:         92
        .size:           2
        .value_kind:     hidden_group_size_x
      - .offset:         94
        .size:           2
        .value_kind:     hidden_group_size_y
      - .offset:         96
        .size:           2
        .value_kind:     hidden_group_size_z
      - .offset:         98
        .size:           2
        .value_kind:     hidden_remainder_x
      - .offset:         100
        .size:           2
        .value_kind:     hidden_remainder_y
      - .offset:         102
        .size:           2
        .value_kind:     hidden_remainder_z
      - .offset:         120
        .size:           8
        .value_kind:     hidden_global_offset_x
      - .offset:         128
        .size:           8
        .value_kind:     hidden_global_offset_y
      - .offset:         136
        .size:           8
        .value_kind:     hidden_global_offset_z
      - .offset:         144
        .size:           2
        .value_kind:     hidden_grid_dims
    .group_segment_fixed_size: 0
    .kernarg_segment_align: 8
    .kernarg_segment_size: 336
    .language:       OpenCL C
    .language_version:
      - 2
      - 0
    .max_flat_workgroup_size: 1024
    .name:           _ZL16dequantize_blockILi32ELi1EXadL_ZL15dequantize_q8_0PKvliR15HIP_vector_typeIfLj2EEEEfEvS1_PT2_lllS2_IjLj3EElll
    .private_segment_fixed_size: 0
    .sgpr_count:     43
    .sgpr_spill_count: 0
    .symbol:         _ZL16dequantize_blockILi32ELi1EXadL_ZL15dequantize_q8_0PKvliR15HIP_vector_typeIfLj2EEEEfEvS1_PT2_lllS2_IjLj3EElll.kd
    .uniform_work_group_size: 1
    .uses_dynamic_stack: false
    .vgpr_count:     19
    .vgpr_spill_count: 0
    .wavefront_size: 64
  - .agpr_count:     0
    .args:
      - .actual_access:  read_only
        .address_space:  global
        .offset:         0
        .size:           8
        .value_kind:     global_buffer
      - .actual_access:  write_only
        .address_space:  global
        .offset:         8
        .size:           8
        .value_kind:     global_buffer
      - .offset:         16
        .size:           8
        .value_kind:     by_value
      - .offset:         24
        .size:           8
        .value_kind:     by_value
      - .offset:         32
        .size:           8
        .value_kind:     by_value
      - .offset:         40
        .size:           12
        .value_kind:     by_value
      - .offset:         56
        .size:           8
        .value_kind:     by_value
      - .offset:         64
        .size:           8
        .value_kind:     by_value
      - .offset:         72
        .size:           8
        .value_kind:     by_value
      - .offset:         80
        .size:           4
        .value_kind:     hidden_block_count_x
      - .offset:         84
        .size:           4
        .value_kind:     hidden_block_count_y
      - .offset:         88
        .size:           4
        .value_kind:     hidden_block_count_z
      - .offset:         92
        .size:           2
        .value_kind:     hidden_group_size_x
      - .offset:         94
        .size:           2
        .value_kind:     hidden_group_size_y
      - .offset:         96
        .size:           2
        .value_kind:     hidden_group_size_z
      - .offset:         98
        .size:           2
        .value_kind:     hidden_remainder_x
      - .offset:         100
        .size:           2
        .value_kind:     hidden_remainder_y
      - .offset:         102
        .size:           2
        .value_kind:     hidden_remainder_z
      - .offset:         120
        .size:           8
        .value_kind:     hidden_global_offset_x
      - .offset:         128
        .size:           8
        .value_kind:     hidden_global_offset_y
      - .offset:         136
        .size:           8
        .value_kind:     hidden_global_offset_z
      - .offset:         144
        .size:           2
        .value_kind:     hidden_grid_dims
    .group_segment_fixed_size: 0
    .kernarg_segment_align: 8
    .kernarg_segment_size: 336
    .language:       OpenCL C
    .language_version:
      - 2
      - 0
    .max_flat_workgroup_size: 1024
    .name:           _ZL13convert_unaryI14__hip_bfloat16fEvPKvPT0_lll15HIP_vector_typeIjLj3EElll
    .private_segment_fixed_size: 0
    .sgpr_count:     91
    .sgpr_spill_count: 0
    .symbol:         _ZL13convert_unaryI14__hip_bfloat16fEvPKvPT0_lll15HIP_vector_typeIjLj3EElll.kd
    .uniform_work_group_size: 1
    .uses_dynamic_stack: false
    .vgpr_count:     16
    .vgpr_spill_count: 0
    .wavefront_size: 64
amdhsa.target:   amdgcn-amd-amdhsa--gfx90a
amdhsa.version:
  - 1
  - 2
...

	.end_amdgpu_metadata
